;; amdgpu-corpus repo=ROCm/rocFFT kind=compiled arch=gfx1030 opt=O3
	.text
	.amdgcn_target "amdgcn-amd-amdhsa--gfx1030"
	.amdhsa_code_object_version 6
	.protected	fft_rtc_fwd_len1365_factors_13_7_5_3_wgs_182_tpt_91_halfLds_dp_ip_CI_sbrr_dirReg ; -- Begin function fft_rtc_fwd_len1365_factors_13_7_5_3_wgs_182_tpt_91_halfLds_dp_ip_CI_sbrr_dirReg
	.globl	fft_rtc_fwd_len1365_factors_13_7_5_3_wgs_182_tpt_91_halfLds_dp_ip_CI_sbrr_dirReg
	.p2align	8
	.type	fft_rtc_fwd_len1365_factors_13_7_5_3_wgs_182_tpt_91_halfLds_dp_ip_CI_sbrr_dirReg,@function
fft_rtc_fwd_len1365_factors_13_7_5_3_wgs_182_tpt_91_halfLds_dp_ip_CI_sbrr_dirReg: ; @fft_rtc_fwd_len1365_factors_13_7_5_3_wgs_182_tpt_91_halfLds_dp_ip_CI_sbrr_dirReg
; %bb.0:
	s_clause 0x2
	s_load_dwordx2 s[14:15], s[4:5], 0x18
	s_load_dwordx4 s[8:11], s[4:5], 0x0
	s_load_dwordx2 s[12:13], s[4:5], 0x50
	s_mov_b64 s[50:51], s[2:3]
	s_mov_b64 s[48:49], s[0:1]
	v_mul_u32_u24_e32 v1, 0x2d1, v0
	v_mov_b32_e32 v3, 0
	s_add_u32 s48, s48, s7
	s_addc_u32 s49, s49, 0
	v_lshrrev_b32_e32 v130, 16, v1
	v_mov_b32_e32 v1, 0
	v_mov_b32_e32 v6, v3
	;; [unrolled: 1-line block ×3, first 2 shown]
	v_lshl_add_u32 v5, s6, 1, v130
	s_waitcnt lgkmcnt(0)
	s_load_dwordx2 s[2:3], s[14:15], 0x0
	v_cmp_lt_u64_e64 s0, s[10:11], 2
	s_and_b32 vcc_lo, exec_lo, s0
	s_cbranch_vccnz .LBB0_8
; %bb.1:
	s_load_dwordx2 s[0:1], s[4:5], 0x10
	v_mov_b32_e32 v1, 0
	s_add_u32 s6, s14, 8
	v_mov_b32_e32 v2, 0
	s_addc_u32 s7, s15, 0
	s_mov_b64 s[18:19], 1
	s_waitcnt lgkmcnt(0)
	s_add_u32 s16, s0, 8
	s_addc_u32 s17, s1, 0
.LBB0_2:                                ; =>This Inner Loop Header: Depth=1
	s_load_dwordx2 s[20:21], s[16:17], 0x0
                                        ; implicit-def: $vgpr7_vgpr8
	s_mov_b32 s0, exec_lo
	s_waitcnt lgkmcnt(0)
	v_or_b32_e32 v4, s21, v6
	v_cmpx_ne_u64_e32 0, v[3:4]
	s_xor_b32 s1, exec_lo, s0
	s_cbranch_execz .LBB0_4
; %bb.3:                                ;   in Loop: Header=BB0_2 Depth=1
	v_cvt_f32_u32_e32 v4, s20
	v_cvt_f32_u32_e32 v7, s21
	s_sub_u32 s0, 0, s20
	s_subb_u32 s22, 0, s21
	v_fmac_f32_e32 v4, 0x4f800000, v7
	v_rcp_f32_e32 v4, v4
	v_mul_f32_e32 v4, 0x5f7ffffc, v4
	v_mul_f32_e32 v7, 0x2f800000, v4
	v_trunc_f32_e32 v7, v7
	v_fmac_f32_e32 v4, 0xcf800000, v7
	v_cvt_u32_f32_e32 v7, v7
	v_cvt_u32_f32_e32 v4, v4
	v_mul_lo_u32 v8, s0, v7
	v_mul_hi_u32 v9, s0, v4
	v_mul_lo_u32 v10, s22, v4
	v_add_nc_u32_e32 v8, v9, v8
	v_mul_lo_u32 v9, s0, v4
	v_add_nc_u32_e32 v8, v8, v10
	v_mul_hi_u32 v10, v4, v9
	v_mul_lo_u32 v11, v4, v8
	v_mul_hi_u32 v12, v4, v8
	v_mul_hi_u32 v13, v7, v9
	v_mul_lo_u32 v9, v7, v9
	v_mul_hi_u32 v14, v7, v8
	v_mul_lo_u32 v8, v7, v8
	v_add_co_u32 v10, vcc_lo, v10, v11
	v_add_co_ci_u32_e32 v11, vcc_lo, 0, v12, vcc_lo
	v_add_co_u32 v9, vcc_lo, v10, v9
	v_add_co_ci_u32_e32 v9, vcc_lo, v11, v13, vcc_lo
	v_add_co_ci_u32_e32 v10, vcc_lo, 0, v14, vcc_lo
	v_add_co_u32 v8, vcc_lo, v9, v8
	v_add_co_ci_u32_e32 v9, vcc_lo, 0, v10, vcc_lo
	v_add_co_u32 v4, vcc_lo, v4, v8
	v_add_co_ci_u32_e32 v7, vcc_lo, v7, v9, vcc_lo
	v_mul_hi_u32 v8, s0, v4
	v_mul_lo_u32 v10, s22, v4
	v_mul_lo_u32 v9, s0, v7
	v_add_nc_u32_e32 v8, v8, v9
	v_mul_lo_u32 v9, s0, v4
	v_add_nc_u32_e32 v8, v8, v10
	v_mul_hi_u32 v10, v4, v9
	v_mul_lo_u32 v11, v4, v8
	v_mul_hi_u32 v12, v4, v8
	v_mul_hi_u32 v13, v7, v9
	v_mul_lo_u32 v9, v7, v9
	v_mul_hi_u32 v14, v7, v8
	v_mul_lo_u32 v8, v7, v8
	v_add_co_u32 v10, vcc_lo, v10, v11
	v_add_co_ci_u32_e32 v11, vcc_lo, 0, v12, vcc_lo
	v_add_co_u32 v9, vcc_lo, v10, v9
	v_add_co_ci_u32_e32 v9, vcc_lo, v11, v13, vcc_lo
	v_add_co_ci_u32_e32 v10, vcc_lo, 0, v14, vcc_lo
	v_add_co_u32 v8, vcc_lo, v9, v8
	v_add_co_ci_u32_e32 v9, vcc_lo, 0, v10, vcc_lo
	v_add_co_u32 v4, vcc_lo, v4, v8
	v_add_co_ci_u32_e32 v11, vcc_lo, v7, v9, vcc_lo
	v_mul_hi_u32 v13, v5, v4
	v_mad_u64_u32 v[9:10], null, v6, v4, 0
	v_mad_u64_u32 v[7:8], null, v5, v11, 0
	v_mad_u64_u32 v[11:12], null, v6, v11, 0
	v_add_co_u32 v4, vcc_lo, v13, v7
	v_add_co_ci_u32_e32 v7, vcc_lo, 0, v8, vcc_lo
	v_add_co_u32 v4, vcc_lo, v4, v9
	v_add_co_ci_u32_e32 v4, vcc_lo, v7, v10, vcc_lo
	v_add_co_ci_u32_e32 v7, vcc_lo, 0, v12, vcc_lo
	v_add_co_u32 v4, vcc_lo, v4, v11
	v_add_co_ci_u32_e32 v9, vcc_lo, 0, v7, vcc_lo
	v_mul_lo_u32 v10, s21, v4
	v_mad_u64_u32 v[7:8], null, s20, v4, 0
	v_mul_lo_u32 v11, s20, v9
	v_sub_co_u32 v7, vcc_lo, v5, v7
	v_add3_u32 v8, v8, v11, v10
	v_sub_nc_u32_e32 v10, v6, v8
	v_subrev_co_ci_u32_e64 v10, s0, s21, v10, vcc_lo
	v_add_co_u32 v11, s0, v4, 2
	v_add_co_ci_u32_e64 v12, s0, 0, v9, s0
	v_sub_co_u32 v13, s0, v7, s20
	v_sub_co_ci_u32_e32 v8, vcc_lo, v6, v8, vcc_lo
	v_subrev_co_ci_u32_e64 v10, s0, 0, v10, s0
	v_cmp_le_u32_e32 vcc_lo, s20, v13
	v_cmp_eq_u32_e64 s0, s21, v8
	v_cndmask_b32_e64 v13, 0, -1, vcc_lo
	v_cmp_le_u32_e32 vcc_lo, s21, v10
	v_cndmask_b32_e64 v14, 0, -1, vcc_lo
	v_cmp_le_u32_e32 vcc_lo, s20, v7
	;; [unrolled: 2-line block ×3, first 2 shown]
	v_cndmask_b32_e64 v15, 0, -1, vcc_lo
	v_cmp_eq_u32_e32 vcc_lo, s21, v10
	v_cndmask_b32_e64 v7, v15, v7, s0
	v_cndmask_b32_e32 v10, v14, v13, vcc_lo
	v_add_co_u32 v13, vcc_lo, v4, 1
	v_add_co_ci_u32_e32 v14, vcc_lo, 0, v9, vcc_lo
	v_cmp_ne_u32_e32 vcc_lo, 0, v10
	v_cndmask_b32_e32 v8, v14, v12, vcc_lo
	v_cndmask_b32_e32 v10, v13, v11, vcc_lo
	v_cmp_ne_u32_e32 vcc_lo, 0, v7
	v_cndmask_b32_e32 v8, v9, v8, vcc_lo
	v_cndmask_b32_e32 v7, v4, v10, vcc_lo
.LBB0_4:                                ;   in Loop: Header=BB0_2 Depth=1
	s_andn2_saveexec_b32 s0, s1
	s_cbranch_execz .LBB0_6
; %bb.5:                                ;   in Loop: Header=BB0_2 Depth=1
	v_cvt_f32_u32_e32 v4, s20
	s_sub_i32 s1, 0, s20
	v_rcp_iflag_f32_e32 v4, v4
	v_mul_f32_e32 v4, 0x4f7ffffe, v4
	v_cvt_u32_f32_e32 v4, v4
	v_mul_lo_u32 v7, s1, v4
	v_mul_hi_u32 v7, v4, v7
	v_add_nc_u32_e32 v4, v4, v7
	v_mul_hi_u32 v4, v5, v4
	v_mul_lo_u32 v7, v4, s20
	v_add_nc_u32_e32 v8, 1, v4
	v_sub_nc_u32_e32 v7, v5, v7
	v_subrev_nc_u32_e32 v9, s20, v7
	v_cmp_le_u32_e32 vcc_lo, s20, v7
	v_cndmask_b32_e32 v7, v7, v9, vcc_lo
	v_cndmask_b32_e32 v4, v4, v8, vcc_lo
	v_cmp_le_u32_e32 vcc_lo, s20, v7
	v_add_nc_u32_e32 v8, 1, v4
	v_cndmask_b32_e32 v7, v4, v8, vcc_lo
	v_mov_b32_e32 v8, v3
.LBB0_6:                                ;   in Loop: Header=BB0_2 Depth=1
	s_or_b32 exec_lo, exec_lo, s0
	s_load_dwordx2 s[0:1], s[6:7], 0x0
	v_mul_lo_u32 v4, v8, s20
	v_mul_lo_u32 v11, v7, s21
	v_mad_u64_u32 v[9:10], null, v7, s20, 0
	s_add_u32 s18, s18, 1
	s_addc_u32 s19, s19, 0
	s_add_u32 s6, s6, 8
	s_addc_u32 s7, s7, 0
	s_add_u32 s16, s16, 8
	s_addc_u32 s17, s17, 0
	v_add3_u32 v4, v10, v11, v4
	v_sub_co_u32 v5, vcc_lo, v5, v9
	v_sub_co_ci_u32_e32 v4, vcc_lo, v6, v4, vcc_lo
	s_waitcnt lgkmcnt(0)
	v_mul_lo_u32 v6, s1, v5
	v_mul_lo_u32 v4, s0, v4
	v_mad_u64_u32 v[1:2], null, s0, v5, v[1:2]
	v_cmp_ge_u64_e64 s0, s[18:19], s[10:11]
	s_and_b32 vcc_lo, exec_lo, s0
	v_add3_u32 v2, v6, v2, v4
	s_cbranch_vccnz .LBB0_9
; %bb.7:                                ;   in Loop: Header=BB0_2 Depth=1
	v_mov_b32_e32 v5, v7
	v_mov_b32_e32 v6, v8
	s_branch .LBB0_2
.LBB0_8:
	v_mov_b32_e32 v8, v6
	v_mov_b32_e32 v7, v5
.LBB0_9:
	s_lshl_b64 s[0:1], s[10:11], 3
	v_mul_hi_u32 v5, 0x2d02d03, v0
	s_add_u32 s0, s14, s0
	s_addc_u32 s1, s15, s1
                                        ; implicit-def: $vgpr34_vgpr35
                                        ; implicit-def: $vgpr38_vgpr39
                                        ; implicit-def: $vgpr50_vgpr51
                                        ; implicit-def: $vgpr54_vgpr55
                                        ; implicit-def: $vgpr66_vgpr67
                                        ; implicit-def: $vgpr62_vgpr63
                                        ; implicit-def: $vgpr70_vgpr71
                                        ; implicit-def: $vgpr42_vgpr43
                                        ; implicit-def: $vgpr46_vgpr47
                                        ; implicit-def: $vgpr30_vgpr31
                                        ; implicit-def: $vgpr26_vgpr27
                                        ; implicit-def: $vgpr10_vgpr11
                                        ; implicit-def: $vgpr58_vgpr59
                                        ; implicit-def: $vgpr74_vgpr75
                                        ; implicit-def: $vgpr82_vgpr83
                                        ; implicit-def: $vgpr90_vgpr91
                                        ; implicit-def: $vgpr18_vgpr19
                                        ; implicit-def: $vgpr22_vgpr23
                                        ; implicit-def: $vgpr78_vgpr79
                                        ; implicit-def: $vgpr86_vgpr87
                                        ; implicit-def: $vgpr94_vgpr95
                                        ; implicit-def: $vgpr98_vgpr99
                                        ; implicit-def: $vgpr102_vgpr103
                                        ; implicit-def: $vgpr14_vgpr15
	s_load_dwordx2 s[0:1], s[0:1], 0x0
	s_load_dwordx2 s[4:5], s[4:5], 0x20
	s_waitcnt lgkmcnt(0)
	v_mul_lo_u32 v3, s0, v8
	v_mul_lo_u32 v4, s1, v7
	v_mad_u64_u32 v[1:2], null, s0, v7, v[1:2]
	v_cmp_gt_u64_e32 vcc_lo, s[4:5], v[7:8]
                                        ; implicit-def: $vgpr6_vgpr7
	v_add3_u32 v2, v4, v2, v3
	v_mul_u32_u24_e32 v3, 0x5b, v5
	v_lshlrev_b64 v[1:2], 4, v[1:2]
	v_sub_nc_u32_e32 v190, v0, v3
	buffer_store_dword v1, off, s[48:51], 0 ; 4-byte Folded Spill
	buffer_store_dword v2, off, s[48:51], 0 offset:4 ; 4-byte Folded Spill
                                        ; implicit-def: $vgpr2_vgpr3
	s_and_saveexec_b32 s1, vcc_lo
	s_cbranch_execz .LBB0_13
; %bb.10:
	v_add_nc_u32_e32 v9, 0x69, v190
	v_mad_u64_u32 v[0:1], null, s2, v190, 0
	v_add_nc_u32_e32 v11, 0xd2, v190
	v_add_nc_u32_e32 v12, 0x13b, v190
	v_mad_u64_u32 v[2:3], null, s2, v9, 0
	v_add_nc_u32_e32 v16, 0x1a4, v190
	;; [unrolled: 3-line block ×3, first 2 shown]
	v_add_nc_u32_e32 v19, 0x2df, v190
	v_mad_u64_u32 v[4:5], null, s3, v190, v[1:2]
	v_mov_b32_e32 v1, v3
	v_mad_u64_u32 v[5:6], null, s2, v11, 0
	v_add_nc_u32_e32 v29, 0x483, v190
	v_add_nc_u32_e32 v30, 0x4ec, v190
	v_mad_u64_u32 v[9:10], null, s3, v9, v[1:2]
	v_mov_b32_e32 v1, v4
	s_clause 0x1
	buffer_load_dword v3, off, s[48:51], 0
	buffer_load_dword v4, off, s[48:51], 0 offset:4
	v_mad_u64_u32 v[24:25], null, s2, v29, 0
	s_mov_b32 s4, exec_lo
	v_lshlrev_b64 v[0:1], 4, v[0:1]
                                        ; implicit-def: $vgpr44_vgpr45
                                        ; implicit-def: $vgpr40_vgpr41
                                        ; implicit-def: $vgpr68_vgpr69
                                        ; implicit-def: $vgpr60_vgpr61
                                        ; implicit-def: $vgpr64_vgpr65
                                        ; implicit-def: $vgpr52_vgpr53
                                        ; implicit-def: $vgpr48_vgpr49
                                        ; implicit-def: $vgpr36_vgpr37
                                        ; implicit-def: $vgpr32_vgpr33
	s_waitcnt vmcnt(1)
	v_add_co_u32 v34, s0, s12, v3
	v_mov_b32_e32 v3, v9
	s_waitcnt vmcnt(0)
	v_add_co_ci_u32_e64 v35, s0, s13, v4, s0
	v_mov_b32_e32 v4, v6
	v_mov_b32_e32 v6, v8
	v_lshlrev_b64 v[2:3], 4, v[2:3]
	v_add_co_u32 v0, s0, v34, v0
	v_mad_u64_u32 v[8:9], null, s3, v11, v[4:5]
	v_add_co_ci_u32_e64 v1, s0, v35, v1, s0
	v_add_co_u32 v2, s0, v34, v2
	v_mad_u64_u32 v[9:10], null, s3, v12, v[6:7]
	v_mad_u64_u32 v[10:11], null, s2, v16, 0
	v_add_co_ci_u32_e64 v3, s0, v35, v3, s0
	v_mov_b32_e32 v6, v8
	s_clause 0x1
	global_load_dwordx4 v[12:15], v[0:1], off
	global_load_dwordx4 v[100:103], v[2:3], off
	v_mad_u64_u32 v[3:4], null, s2, v17, 0
	v_mov_b32_e32 v8, v9
	v_mov_b32_e32 v2, v11
	v_lshlrev_b64 v[0:1], 4, v[5:6]
	v_lshlrev_b64 v[5:6], 4, v[7:8]
	v_mad_u64_u32 v[7:8], null, s3, v16, v[2:3]
	v_add_co_u32 v0, s0, v34, v0
	v_mov_b32_e32 v2, v4
	v_add_co_ci_u32_e64 v1, s0, v35, v1, s0
	v_add_co_u32 v4, s0, v34, v5
	v_mad_u64_u32 v[8:9], null, s2, v18, 0
	v_add_co_ci_u32_e64 v5, s0, v35, v6, s0
	v_mov_b32_e32 v11, v7
	v_mad_u64_u32 v[6:7], null, s3, v17, v[2:3]
	v_mad_u64_u32 v[16:17], null, s2, v19, 0
	v_mov_b32_e32 v2, v9
	s_clause 0x1
	global_load_dwordx4 v[96:99], v[0:1], off
	global_load_dwordx4 v[92:95], v[4:5], off
	v_lshlrev_b64 v[0:1], 4, v[10:11]
	v_mov_b32_e32 v4, v6
	v_mad_u64_u32 v[9:10], null, s3, v18, v[2:3]
	v_mov_b32_e32 v2, v17
	v_add_nc_u32_e32 v10, 0x348, v190
	v_lshlrev_b64 v[3:4], 4, v[3:4]
	v_add_co_u32 v0, s0, v34, v0
	v_add_co_ci_u32_e64 v1, s0, v35, v1, s0
	v_mad_u64_u32 v[5:6], null, s3, v19, v[2:3]
	v_lshlrev_b64 v[6:7], 4, v[8:9]
	v_mad_u64_u32 v[8:9], null, s2, v10, 0
	v_add_co_u32 v2, s0, v34, v3
	v_add_co_ci_u32_e64 v3, s0, v35, v4, s0
	v_mov_b32_e32 v17, v5
	s_clause 0x1
	global_load_dwordx4 v[84:87], v[0:1], off
	global_load_dwordx4 v[76:79], v[2:3], off
	v_mov_b32_e32 v2, v9
	v_add_co_u32 v0, s0, v34, v6
	v_lshlrev_b64 v[3:4], 4, v[16:17]
	v_add_nc_u32_e32 v16, 0x3b1, v190
	v_add_nc_u32_e32 v17, 0x41a, v190
	v_add_co_ci_u32_e64 v1, s0, v35, v7, s0
	v_mad_u64_u32 v[5:6], null, s3, v10, v[2:3]
	v_mad_u64_u32 v[6:7], null, s2, v16, 0
	;; [unrolled: 1-line block ×3, first 2 shown]
	v_add_co_u32 v2, s0, v34, v3
	v_add_co_ci_u32_e64 v3, s0, v35, v4, s0
	v_mov_b32_e32 v9, v5
	v_mov_b32_e32 v4, v7
	;; [unrolled: 1-line block ×3, first 2 shown]
	v_mad_u64_u32 v[26:27], null, s3, v16, v[4:5]
	v_mad_u64_u32 v[4:5], null, s3, v17, v[5:6]
	;; [unrolled: 1-line block ×3, first 2 shown]
	s_clause 0x1
	global_load_dwordx4 v[20:23], v[0:1], off
	global_load_dwordx4 v[16:19], v[2:3], off
	v_lshlrev_b64 v[1:2], 4, v[8:9]
	v_mov_b32_e32 v0, v25
	v_mov_b32_e32 v7, v26
	;; [unrolled: 1-line block ×3, first 2 shown]
	v_mad_u64_u32 v[3:4], null, s3, v29, v[0:1]
	v_mov_b32_e32 v0, v28
	v_add_co_u32 v1, s0, v34, v1
	v_lshlrev_b64 v[4:5], 4, v[6:7]
	v_add_co_ci_u32_e64 v2, s0, v35, v2, s0
	v_mad_u64_u32 v[6:7], null, s3, v30, v[0:1]
	v_lshlrev_b64 v[7:8], 4, v[10:11]
	v_mov_b32_e32 v25, v3
	v_add_co_u32 v3, s0, v34, v4
	v_add_co_ci_u32_e64 v4, s0, v35, v5, s0
	v_mov_b32_e32 v28, v6
	v_lshlrev_b64 v[9:10], 4, v[24:25]
	v_add_co_u32 v5, s0, v34, v7
	v_add_co_ci_u32_e64 v6, s0, v35, v8, s0
	v_lshlrev_b64 v[7:8], 4, v[27:28]
	v_add_co_u32 v9, s0, v34, v9
	v_add_co_ci_u32_e64 v10, s0, v35, v10, s0
                                        ; implicit-def: $vgpr24_vgpr25
                                        ; implicit-def: $vgpr28_vgpr29
	v_add_co_u32 v7, s0, v34, v7
	v_add_co_ci_u32_e64 v8, s0, v35, v8, s0
	s_clause 0x4
	global_load_dwordx4 v[88:91], v[1:2], off
	global_load_dwordx4 v[80:83], v[3:4], off
	;; [unrolled: 1-line block ×5, first 2 shown]
                                        ; implicit-def: $vgpr0_vgpr1
                                        ; implicit-def: $vgpr8_vgpr9
	v_cmpx_gt_u32_e32 14, v190
	s_cbranch_execz .LBB0_12
; %bb.11:
	v_add_nc_u32_e32 v8, 0x5b, v190
	v_add_nc_u32_e32 v10, 0xc4, v190
	;; [unrolled: 1-line block ×5, first 2 shown]
	v_mad_u64_u32 v[0:1], null, s2, v8, 0
	v_mad_u64_u32 v[2:3], null, s2, v10, 0
	;; [unrolled: 1-line block ×6, first 2 shown]
	s_waitcnt vmcnt(0)
	v_mad_u64_u32 v[9:10], null, s3, v10, v[3:4]
	v_mov_b32_e32 v10, v27
	v_add_nc_u32_e32 v40, 0x268, v190
	v_add_nc_u32_e32 v42, 0x2d1, v190
	;; [unrolled: 1-line block ×3, first 2 shown]
	v_mov_b32_e32 v1, v8
	v_mov_b32_e32 v8, v25
	;; [unrolled: 1-line block ×3, first 2 shown]
	v_mad_u64_u32 v[27:28], null, s3, v28, v[10:11]
	v_lshlrev_b64 v[0:1], 4, v[0:1]
	v_mad_u64_u32 v[8:9], null, s3, v11, v[8:9]
	v_lshlrev_b64 v[2:3], 4, v[2:3]
	v_mad_u64_u32 v[36:37], null, s2, v40, 0
	v_add_co_u32 v0, s0, v34, v0
	v_add_co_ci_u32_e64 v1, s0, v35, v1, s0
	v_mov_b32_e32 v25, v8
	v_add_co_u32 v9, s0, v34, v2
	v_mov_b32_e32 v28, v33
	v_lshlrev_b64 v[26:27], 4, v[26:27]
	v_lshlrev_b64 v[24:25], 4, v[24:25]
	v_add_co_ci_u32_e64 v10, s0, v35, v3, s0
	v_mad_u64_u32 v[28:29], null, s3, v29, v[28:29]
	v_mov_b32_e32 v29, v37
	v_add_co_u32 v24, s0, v34, v24
	v_add_co_ci_u32_e64 v25, s0, v35, v25, s0
	v_mad_u64_u32 v[38:39], null, s2, v42, 0
	v_add_co_u32 v30, s0, v34, v26
	v_mov_b32_e32 v33, v28
	v_mad_u64_u32 v[48:49], null, s2, v43, 0
	v_mad_u64_u32 v[40:41], null, s3, v40, v[29:30]
	v_mov_b32_e32 v37, v39
	v_lshlrev_b64 v[32:33], 4, v[32:33]
	v_add_co_ci_u32_e64 v31, s0, v35, v27, s0
	s_clause 0x1
	global_load_dwordx4 v[0:3], v[0:1], off
	global_load_dwordx4 v[8:11], v[9:10], off
	v_mad_u64_u32 v[41:42], null, s3, v42, v[37:38]
	v_mov_b32_e32 v37, v40
	v_add_co_u32 v32, s0, v34, v32
	v_add_co_ci_u32_e64 v33, s0, v35, v33, s0
	v_lshlrev_b64 v[36:37], 4, v[36:37]
	v_mov_b32_e32 v40, v49
	s_clause 0x1
	global_load_dwordx4 v[24:27], v[24:25], off
	global_load_dwordx4 v[28:31], v[30:31], off
	v_mov_b32_e32 v39, v41
	v_add_nc_u32_e32 v52, 0x3a3, v190
	v_add_nc_u32_e32 v60, 0x40c, v190
	v_add_co_u32 v36, s0, v34, v36
	v_add_co_ci_u32_e64 v37, s0, v35, v37, s0
	v_mad_u64_u32 v[49:50], null, s3, v43, v[40:41]
	s_clause 0x1
	global_load_dwordx4 v[44:47], v[32:33], off
	global_load_dwordx4 v[40:43], v[36:37], off
	v_mad_u64_u32 v[50:51], null, s2, v52, 0
	v_lshlrev_b64 v[38:39], 4, v[38:39]
	v_add_nc_u32_e32 v61, 0x475, v190
	v_add_nc_u32_e32 v67, 0x4de, v190
	;; [unrolled: 1-line block ×3, first 2 shown]
	v_add_co_u32 v32, s0, v34, v38
	v_lshlrev_b64 v[37:38], 4, v[48:49]
	v_mov_b32_e32 v36, v51
	v_mad_u64_u32 v[54:55], null, s2, v61, 0
	v_add_co_ci_u32_e64 v33, s0, v35, v39, s0
	v_mad_u64_u32 v[48:49], null, s3, v52, v[36:37]
	v_mad_u64_u32 v[52:53], null, s2, v60, 0
	v_add_co_u32 v36, s0, v34, v37
	v_add_co_ci_u32_e64 v37, s0, v35, v38, s0
	v_mov_b32_e32 v51, v48
	v_mov_b32_e32 v39, v55
	;; [unrolled: 1-line block ×3, first 2 shown]
	v_mad_u64_u32 v[48:49], null, s2, v67, 0
	v_mad_u64_u32 v[64:65], null, s3, v60, v[38:39]
	;; [unrolled: 1-line block ×3, first 2 shown]
	v_mov_b32_e32 v53, v64
	s_waitcnt vmcnt(0)
	v_mad_u64_u32 v[38:39], null, s3, v61, v[39:40]
	s_clause 0x1
	global_load_dwordx4 v[68:71], v[32:33], off
	global_load_dwordx4 v[60:63], v[36:37], off
	v_mov_b32_e32 v32, v49
	v_lshlrev_b64 v[36:37], 4, v[50:51]
	v_mad_u64_u32 v[32:33], null, s3, v67, v[32:33]
	v_mov_b32_e32 v33, v66
	v_mov_b32_e32 v55, v38
	v_lshlrev_b64 v[38:39], 4, v[52:53]
	v_add_co_u32 v36, s0, v34, v36
	v_mad_u64_u32 v[50:51], null, s3, v104, v[33:34]
	v_mov_b32_e32 v49, v32
	v_add_co_ci_u32_e64 v37, s0, v35, v37, s0
	v_lshlrev_b64 v[51:52], 4, v[54:55]
	v_add_co_u32 v32, s0, v34, v38
	v_mov_b32_e32 v66, v50
	v_add_co_ci_u32_e64 v33, s0, v35, v39, s0
	v_lshlrev_b64 v[38:39], 4, v[48:49]
	v_add_co_u32 v48, s0, v34, v51
	v_lshlrev_b64 v[50:51], 4, v[65:66]
	v_add_co_ci_u32_e64 v49, s0, v35, v52, s0
	v_add_co_u32 v38, s0, v34, v38
	v_add_co_ci_u32_e64 v39, s0, v35, v39, s0
	v_add_co_u32 v34, s0, v34, v50
	v_add_co_ci_u32_e64 v35, s0, v35, v51, s0
	s_clause 0x4
	global_load_dwordx4 v[64:67], v[36:37], off
	global_load_dwordx4 v[52:55], v[32:33], off
	;; [unrolled: 1-line block ×5, first 2 shown]
.LBB0_12:
	s_or_b32 exec_lo, exec_lo, s4
.LBB0_13:
	s_or_b32 exec_lo, exec_lo, s1
	s_waitcnt vmcnt(0)
	v_add_f64 v[108:109], v[4:5], v[100:101]
	s_mov_b32 s4, 0x1ea71119
	s_mov_b32 s14, 0xebaa3ed8
	;; [unrolled: 1-line block ×4, first 2 shown]
	v_add_f64 v[104:105], v[102:103], -v[6:7]
	v_add_f64 v[110:111], v[56:57], v[96:97]
	v_add_f64 v[112:113], v[100:101], v[12:13]
	s_mov_b32 s0, 0x42a4c3d2
	s_mov_b32 s6, 0xb2365da1
	;; [unrolled: 1-line block ×8, first 2 shown]
	v_add_f64 v[106:107], v[98:99], -v[58:59]
	v_add_f64 v[122:123], v[72:73], v[92:93]
	s_mov_b32 s16, 0x2ef20147
	s_mov_b32 s34, 0x4bc48dbf
	;; [unrolled: 1-line block ×4, first 2 shown]
	v_mul_f64 v[118:119], v[108:109], s[4:5]
	v_mul_f64 v[120:121], v[108:109], s[14:15]
	;; [unrolled: 1-line block ×3, first 2 shown]
	s_mov_b32 s35, 0x3fcea1e5
	s_mov_b32 s21, 0xbfe7f3cc
	v_add_f64 v[131:132], v[94:95], -v[74:75]
	v_mul_f64 v[135:136], v[110:111], s[6:7]
	v_add_f64 v[133:134], v[96:97], v[112:113]
	v_mul_f64 v[137:138], v[110:111], s[10:11]
	v_add_f64 v[124:125], v[80:81], v[84:85]
	v_mul_f64 v[145:146], v[108:109], s[20:21]
	v_mul_f64 v[147:148], v[108:109], s[10:11]
	;; [unrolled: 1-line block ×3, first 2 shown]
	s_mov_b32 s38, 0x24c2f84
	s_mov_b32 s22, 0xe00740e9
	s_mov_b32 s27, 0xbfedeba7
	s_mov_b32 s39, 0x3fe5384d
	v_mul_f64 v[154:155], v[122:123], s[10:11]
	v_mul_f64 v[158:159], v[122:123], s[6:7]
	s_mov_b32 s29, 0xbfe5384d
	s_mov_b32 s23, 0x3fec55a7
	;; [unrolled: 1-line block ×3, first 2 shown]
	v_fma_f64 v[139:140], v[104:105], s[0:1], v[118:119]
	v_fma_f64 v[141:142], v[104:105], s[18:19], v[120:121]
	;; [unrolled: 1-line block ×3, first 2 shown]
	s_mov_b32 s26, s16
	s_mov_b32 s28, s38
	;; [unrolled: 1-line block ×3, first 2 shown]
	v_fma_f64 v[162:163], v[106:107], s[16:17], v[135:136]
	v_add_f64 v[133:134], v[92:93], v[133:134]
	v_fma_f64 v[164:165], v[106:107], s[34:35], v[137:138]
	v_add_f64 v[116:117], v[86:87], -v[82:83]
	v_add_f64 v[143:144], v[88:89], v[76:77]
	v_mul_f64 v[166:167], v[110:111], s[14:15]
	v_mul_f64 v[168:169], v[110:111], s[22:23]
	;; [unrolled: 1-line block ×8, first 2 shown]
	v_fma_f64 v[186:187], v[104:105], s[38:39], v[145:146]
	v_fma_f64 v[188:189], v[104:105], s[34:35], v[147:148]
	;; [unrolled: 1-line block ×3, first 2 shown]
	v_add_f64 v[139:140], v[12:13], v[139:140]
	v_add_f64 v[141:142], v[12:13], v[141:142]
	v_fma_f64 v[193:194], v[131:132], s[34:35], v[154:155]
	v_fma_f64 v[195:196], v[131:132], s[26:27], v[158:159]
	v_add_f64 v[160:161], v[12:13], v[160:161]
	v_fma_f64 v[147:148], v[104:105], s[36:37], v[147:148]
	v_mul_f64 v[203:204], v[122:123], s[14:15]
	v_add_f64 v[133:134], v[84:85], v[133:134]
	v_fma_f64 v[122:123], v[104:105], s[26:27], v[126:127]
	s_mov_b32 s30, 0x4267c47c
	s_mov_b32 s31, 0x3fddbe06
	;; [unrolled: 1-line block ×8, first 2 shown]
	v_add_f64 v[112:113], v[78:79], -v[90:91]
	v_add_f64 v[156:157], v[16:17], v[20:21]
	v_mul_f64 v[180:181], v[124:125], s[14:15]
	v_mul_f64 v[110:111], v[110:111], s[4:5]
	v_fma_f64 v[126:127], v[104:105], s[28:29], v[145:146]
	v_add_f64 v[139:140], v[162:163], v[139:140]
	v_add_f64 v[141:142], v[164:165], v[141:142]
	v_mul_f64 v[162:163], v[143:144], s[4:5]
	v_fma_f64 v[118:119], v[104:105], s[40:41], v[118:119]
	v_fma_f64 v[145:146], v[106:107], s[24:25], v[166:167]
	;; [unrolled: 1-line block ×6, first 2 shown]
	v_add_f64 v[186:187], v[12:13], v[186:187]
	v_add_f64 v[133:134], v[76:77], v[133:134]
	;; [unrolled: 1-line block ×3, first 2 shown]
	v_fma_f64 v[168:169], v[106:107], s[30:31], v[168:169]
	v_fma_f64 v[120:121], v[104:105], s[24:25], v[120:121]
	;; [unrolled: 1-line block ×3, first 2 shown]
	v_add_f64 v[147:148], v[12:13], v[147:148]
	v_add_f64 v[122:123], v[12:13], v[122:123]
	v_fma_f64 v[213:214], v[104:105], s[30:31], v[108:109]
	v_add_f64 v[114:115], v[22:23], -v[18:19]
	v_mul_f64 v[182:183], v[124:125], s[10:11]
	v_mul_f64 v[184:185], v[143:144], s[14:15]
	;; [unrolled: 1-line block ×3, first 2 shown]
	v_add_f64 v[139:140], v[193:194], v[139:140]
	v_add_f64 v[141:142], v[195:196], v[141:142]
	v_mul_f64 v[201:202], v[156:157], s[20:21]
	v_add_f64 v[188:189], v[12:13], v[188:189]
	v_fma_f64 v[166:167], v[106:107], s[18:19], v[166:167]
	v_fma_f64 v[135:136], v[106:107], s[26:27], v[135:136]
	;; [unrolled: 1-line block ×6, first 2 shown]
	v_add_f64 v[126:127], v[12:13], v[126:127]
	v_add_f64 v[118:119], v[12:13], v[118:119]
	;; [unrolled: 1-line block ×6, first 2 shown]
	v_fma_f64 v[172:173], v[131:132], s[30:31], v[172:173]
	v_add_f64 v[147:148], v[168:169], v[147:148]
	v_fma_f64 v[168:169], v[106:107], s[0:1], v[110:111]
	v_add_f64 v[122:123], v[152:153], v[122:123]
	v_add_f64 v[150:151], v[10:11], -v[34:35]
	v_mul_f64 v[197:198], v[124:125], s[4:5]
	v_add_f64 v[139:140], v[207:208], v[139:140]
	v_add_f64 v[141:142], v[211:212], v[141:142]
	;; [unrolled: 1-line block ×3, first 2 shown]
	v_mul_f64 v[199:200], v[156:157], s[22:23]
	v_fma_f64 v[193:194], v[131:132], s[38:39], v[176:177]
	v_fma_f64 v[215:216], v[112:113], s[24:25], v[184:185]
	v_add_f64 v[186:187], v[205:206], v[188:189]
	v_fma_f64 v[176:177], v[131:132], s[28:29], v[176:177]
	v_fma_f64 v[174:175], v[131:132], s[40:41], v[174:175]
	v_fma_f64 v[188:189], v[116:117], s[36:37], v[182:183]
	v_fma_f64 v[154:155], v[131:132], s[36:37], v[154:155]
	v_fma_f64 v[152:153], v[112:113], s[36:37], v[164:165]
	v_fma_f64 v[211:212], v[114:115], s[38:39], v[201:202]
	v_add_f64 v[126:127], v[166:167], v[126:127]
	v_add_f64 v[118:119], v[135:136], v[118:119]
	;; [unrolled: 1-line block ×5, first 2 shown]
	v_fma_f64 v[158:159], v[131:132], s[16:17], v[158:159]
	v_add_f64 v[120:121], v[137:138], v[120:121]
	v_mul_f64 v[137:138], v[143:144], s[22:23]
	v_add_f64 v[122:123], v[172:173], v[122:123]
	v_fma_f64 v[172:173], v[131:132], s[18:19], v[203:204]
	v_add_f64 v[141:142], v[217:218], v[141:142]
	v_add_f64 v[168:169], v[168:169], v[207:208]
	v_fma_f64 v[205:206], v[116:117], s[40:41], v[197:198]
	v_fma_f64 v[209:210], v[114:115], s[42:43], v[199:200]
	v_add_f64 v[139:140], v[215:216], v[139:140]
	v_add_f64 v[145:146], v[193:194], v[186:187]
	v_fma_f64 v[166:167], v[116:117], s[0:1], v[197:198]
	v_add_f64 v[147:148], v[176:177], v[147:148]
	v_mul_f64 v[176:177], v[143:144], s[6:7]
	v_mul_f64 v[191:192], v[124:125], s[6:7]
	v_fma_f64 v[124:125], v[116:117], s[24:25], v[180:181]
	v_fma_f64 v[180:181], v[104:105], s[42:43], v[108:109]
	;; [unrolled: 1-line block ×3, first 2 shown]
	v_add_f64 v[126:127], v[174:175], v[126:127]
	v_add_f64 v[154:155], v[154:155], v[118:119]
	;; [unrolled: 1-line block ×6, first 2 shown]
	v_fma_f64 v[152:153], v[112:113], s[42:43], v[137:138]
	v_mul_f64 v[104:105], v[150:151], s[42:43]
	v_add_f64 v[213:214], v[30:31], -v[50:51]
	v_add_f64 v[197:198], v[211:212], v[141:142]
	v_add_f64 v[141:142], v[158:159], v[120:121]
	v_add_f64 v[158:159], v[26:27], -v[38:39]
	v_add_f64 v[160:161], v[172:173], v[168:169]
	v_fma_f64 v[172:173], v[106:107], s[40:41], v[110:111]
	v_mul_f64 v[106:107], v[150:151], s[40:41]
	v_add_f64 v[133:134], v[205:206], v[145:146]
	v_add_f64 v[195:196], v[209:210], v[139:140]
	v_fma_f64 v[139:140], v[116:117], s[38:39], v[170:171]
	v_fma_f64 v[145:146], v[116:117], s[30:31], v[178:179]
	v_add_f64 v[170:171], v[124:125], v[122:123]
	v_fma_f64 v[168:169], v[112:113], s[16:17], v[176:177]
	v_fma_f64 v[178:179], v[116:117], s[16:17], v[191:192]
	v_mul_f64 v[110:111], v[150:151], s[24:25]
	v_add_f64 v[180:181], v[12:13], v[180:181]
	v_mul_f64 v[120:121], v[150:151], s[28:29]
	v_add_f64 v[207:208], v[80:81], v[118:119]
	;; [unrolled: 2-line block ×4, first 2 shown]
	v_fma_f64 v[211:212], v[108:109], s[22:23], -v[104:105]
	v_add_f64 v[135:136], v[152:153], v[135:136]
	v_add_f64 v[166:167], v[166:167], v[147:148]
	v_mul_f64 v[12:13], v[158:159], s[40:41]
	v_mul_f64 v[124:125], v[158:159], s[26:27]
	;; [unrolled: 1-line block ×3, first 2 shown]
	v_fma_f64 v[152:153], v[108:109], s[4:5], -v[106:107]
	v_fma_f64 v[176:177], v[112:113], s[26:27], v[176:177]
	v_fma_f64 v[215:216], v[112:113], s[40:41], v[162:163]
	v_add_f64 v[139:140], v[139:140], v[154:155]
	v_add_f64 v[141:142], v[145:146], v[141:142]
	v_mul_f64 v[144:145], v[158:159], s[36:37]
	v_mul_f64 v[146:147], v[158:159], s[38:39]
	;; [unrolled: 1-line block ×3, first 2 shown]
	v_fma_f64 v[154:155], v[108:109], s[14:15], -v[110:111]
	v_add_f64 v[133:134], v[168:169], v[133:134]
	v_fma_f64 v[219:220], v[108:109], s[20:21], -v[120:121]
	v_add_f64 v[225:226], v[178:179], v[160:161]
	v_fma_f64 v[162:163], v[108:109], s[6:7], -v[118:119]
	v_fma_f64 v[131:132], v[131:132], s[24:25], v[203:204]
	v_fma_f64 v[221:222], v[150:151], s[34:35], v[126:127]
	v_mul_f64 v[223:224], v[122:123], s[22:23]
	v_fma_f64 v[168:169], v[150:151], s[36:37], v[126:127]
	v_add_f64 v[178:179], v[0:1], v[211:212]
	v_add_f64 v[150:151], v[48:49], v[28:29]
	v_fma_f64 v[211:212], v[122:123], s[4:5], -v[12:13]
	v_mul_f64 v[126:127], v[213:214], s[24:25]
	v_add_f64 v[172:173], v[172:173], v[180:181]
	v_add_f64 v[180:181], v[46:47], -v[54:55]
	v_add_f64 v[203:204], v[0:1], v[152:153]
	v_fma_f64 v[229:230], v[122:123], s[6:7], -v[124:125]
	v_mul_f64 v[152:153], v[213:214], s[36:37]
	v_mul_f64 v[186:187], v[156:157], s[4:5]
	;; [unrolled: 1-line block ×4, first 2 shown]
	v_fma_f64 v[164:165], v[112:113], s[34:35], v[164:165]
	v_fma_f64 v[137:138], v[112:113], s[30:31], v[137:138]
	v_add_f64 v[231:232], v[0:1], v[154:155]
	v_fma_f64 v[233:234], v[122:123], s[10:11], -v[144:145]
	v_fma_f64 v[237:238], v[122:123], s[20:21], -v[146:147]
	v_add_f64 v[235:236], v[0:1], v[162:163]
	v_add_f64 v[219:220], v[0:1], v[219:220]
	v_fma_f64 v[239:240], v[122:123], s[14:15], -v[148:149]
	v_add_f64 v[221:222], v[0:1], v[221:222]
	v_fma_f64 v[241:242], v[158:159], s[42:43], v[223:224]
	v_fma_f64 v[223:224], v[158:159], s[30:31], v[223:224]
	v_add_f64 v[168:169], v[0:1], v[168:169]
	v_mul_f64 v[154:155], v[213:214], s[16:17]
	v_mul_f64 v[158:159], v[213:214], s[30:31]
	;; [unrolled: 1-line block ×3, first 2 shown]
	v_add_f64 v[178:179], v[211:212], v[178:179]
	v_fma_f64 v[211:212], v[150:151], s[14:15], -v[126:127]
	v_mul_f64 v[243:244], v[150:151], s[20:21]
	v_mul_f64 v[245:246], v[156:157], s[10:11]
	v_add_f64 v[162:163], v[52:53], v[44:45]
	v_mul_f64 v[156:157], v[180:181], s[26:27]
	v_add_f64 v[247:248], v[176:177], v[166:167]
	v_fma_f64 v[176:177], v[116:117], s[26:27], v[191:192]
	v_add_f64 v[191:192], v[42:43], -v[66:67]
	v_add_f64 v[203:204], v[229:230], v[203:204]
	v_fma_f64 v[229:230], v[150:151], s[10:11], -v[152:153]
	v_mul_f64 v[116:117], v[180:181], s[38:39]
	v_fma_f64 v[205:206], v[114:115], s[40:41], v[186:187]
	v_fma_f64 v[184:185], v[112:113], s[18:19], v[184:185]
	;; [unrolled: 1-line block ×3, first 2 shown]
	v_add_f64 v[249:250], v[164:165], v[170:171]
	v_add_f64 v[131:132], v[131:132], v[172:173]
	;; [unrolled: 1-line block ×7, first 2 shown]
	v_fma_f64 v[235:236], v[150:151], s[6:7], -v[154:155]
	v_fma_f64 v[237:238], v[150:151], s[22:23], -v[158:159]
	;; [unrolled: 1-line block ×3, first 2 shown]
	v_add_f64 v[178:179], v[211:212], v[178:179]
	v_fma_f64 v[211:212], v[213:214], s[38:39], v[243:244]
	v_mul_f64 v[166:167], v[180:181], s[30:31]
	v_fma_f64 v[213:214], v[213:214], s[28:29], v[243:244]
	v_fma_f64 v[241:242], v[162:163], s[6:7], -v[156:157]
	v_mul_f64 v[168:169], v[180:181], s[24:25]
	v_mul_f64 v[170:171], v[180:181], s[34:35]
	;; [unrolled: 1-line block ×3, first 2 shown]
	v_add_f64 v[172:173], v[64:65], v[40:41]
	v_add_f64 v[137:138], v[137:138], v[182:183]
	v_fma_f64 v[253:254], v[114:115], s[0:1], v[186:187]
	v_fma_f64 v[182:183], v[112:113], s[28:29], v[188:189]
	v_add_f64 v[186:187], v[229:230], v[203:204]
	v_fma_f64 v[188:189], v[162:163], s[20:21], -v[116:117]
	v_mul_f64 v[112:113], v[191:192], s[18:19]
	v_fma_f64 v[217:218], v[114:115], s[16:17], v[174:175]
	v_mul_f64 v[164:165], v[191:192], s[28:29]
	v_fma_f64 v[128:129], v[114:115], s[26:27], v[174:175]
	v_add_f64 v[131:132], v[176:177], v[131:132]
	v_add_f64 v[203:204], v[235:236], v[231:232]
	;; [unrolled: 1-line block ×4, first 2 shown]
	v_mul_f64 v[174:175], v[191:192], s[40:41]
	v_add_f64 v[211:212], v[211:212], v[221:222]
	v_fma_f64 v[221:222], v[162:163], s[22:23], -v[166:167]
	v_add_f64 v[213:214], v[213:214], v[223:224]
	v_add_f64 v[223:224], v[241:242], v[178:179]
	v_fma_f64 v[231:232], v[162:163], s[14:15], -v[168:169]
	v_fma_f64 v[233:234], v[162:163], s[10:11], -v[170:171]
	v_fma_f64 v[235:236], v[180:181], s[40:41], v[243:244]
	v_fma_f64 v[237:238], v[180:181], s[0:1], v[243:244]
	v_mul_f64 v[176:177], v[191:192], s[34:35]
	v_mul_f64 v[178:179], v[191:192], s[30:31]
	;; [unrolled: 1-line block ×3, first 2 shown]
	v_add_f64 v[243:244], v[70:71], -v[62:63]
	v_add_f64 v[141:142], v[215:216], v[141:142]
	v_add_f64 v[188:189], v[188:189], v[186:187]
	;; [unrolled: 1-line block ×3, first 2 shown]
	v_fma_f64 v[215:216], v[172:173], s[14:15], -v[112:113]
	v_fma_f64 v[251:252], v[114:115], s[24:25], v[209:210]
	v_fma_f64 v[209:210], v[114:115], s[18:19], v[209:210]
	v_fma_f64 v[239:240], v[172:173], s[20:21], -v[164:165]
	v_add_f64 v[139:140], v[184:185], v[139:140]
	v_fma_f64 v[199:200], v[114:115], s[30:31], v[199:200]
	v_fma_f64 v[201:202], v[114:115], s[28:29], v[201:202]
	v_add_f64 v[225:226], v[227:228], v[225:226]
	v_fma_f64 v[227:228], v[114:115], s[34:35], v[245:246]
	v_fma_f64 v[245:246], v[114:115], s[36:37], v[245:246]
	v_add_f64 v[131:132], v[182:183], v[131:132]
	v_add_f64 v[203:204], v[221:222], v[203:204]
	;; [unrolled: 1-line block ×6, first 2 shown]
	v_fma_f64 v[229:230], v[172:173], s[4:5], -v[174:175]
	v_fma_f64 v[231:232], v[172:173], s[10:11], -v[176:177]
	;; [unrolled: 1-line block ×3, first 2 shown]
	v_fma_f64 v[235:236], v[191:192], s[16:17], v[241:242]
	v_fma_f64 v[191:192], v[191:192], s[26:27], v[241:242]
	v_mul_f64 v[114:115], v[243:244], s[36:37]
	v_mul_f64 v[182:183], v[243:244], s[30:31]
	v_mul_f64 v[184:185], v[243:244], s[28:29]
	v_mul_f64 v[186:187], v[243:244], s[0:1]
	v_mul_f64 v[237:238], v[180:181], s[14:15]
	v_add_f64 v[215:216], v[215:216], v[188:189]
	v_mul_f64 v[188:189], v[243:244], s[26:27]
	v_add_f64 v[207:208], v[72:73], v[207:208]
	v_add_f64 v[223:224], v[239:240], v[223:224]
	;; [unrolled: 1-line block ×15, first 2 shown]
	v_fma_f64 v[213:214], v[180:181], s[10:11], -v[114:115]
	v_fma_f64 v[229:230], v[180:181], s[22:23], -v[182:183]
	;; [unrolled: 1-line block ×4, first 2 shown]
	v_fma_f64 v[235:236], v[243:244], s[24:25], v[237:238]
	v_fma_f64 v[237:238], v[243:244], s[18:19], v[237:238]
	v_fma_f64 v[239:240], v[180:181], s[6:7], -v[188:189]
	v_add_f64 v[207:208], v[56:57], v[207:208]
	v_and_b32_e32 v243, 1, v130
	v_add_f64 v[227:228], v[245:246], v[131:132]
	v_add_f64 v[209:210], v[209:210], v[247:248]
	v_cmp_gt_u32_e64 s1, 14, v190
	v_cmp_eq_u32_e64 s0, 1, v243
	v_add_f64 v[130:131], v[213:214], v[223:224]
	v_add_f64 v[142:143], v[229:230], v[215:216]
	;; [unrolled: 1-line block ×8, first 2 shown]
	v_mad_u32_u24 v191, 0x68, v190, 0
	v_cndmask_b32_e64 v192, 0, 0x555, s0
	v_lshl_add_u32 v191, v192, 3, v191
	ds_write2_b64 v191, v[195:196], v[197:198] offset0:2 offset1:3
	ds_write2_b64 v191, v[193:194], v[205:206] offset0:4 offset1:5
	ds_write2_b64 v191, v[217:218], v[209:210] offset0:6 offset1:7
	ds_write2_b64 v191, v[128:129], v[241:242] offset0:8 offset1:9
	ds_write2_b64 v191, v[201:202], v[199:200] offset0:10 offset1:11
	ds_write2_b64 v191, v[207:208], v[225:226] offset1:1
	ds_write_b64 v191, v[227:228] offset:96
	s_and_saveexec_b32 s0, s1
	s_cbranch_execz .LBB0_15
; %bb.14:
	v_add_f64 v[128:129], v[8:9], v[0:1]
	v_mul_f64 v[193:194], v[108:109], s[20:21]
	v_mul_f64 v[195:196], v[108:109], s[6:7]
	;; [unrolled: 1-line block ×10, first 2 shown]
	v_add_f64 v[128:129], v[24:25], v[128:129]
	v_add_f64 v[120:121], v[120:121], v[193:194]
	;; [unrolled: 1-line block ×6, first 2 shown]
	v_mul_f64 v[108:109], v[150:151], s[14:15]
	v_mul_f64 v[193:194], v[150:151], s[10:11]
	;; [unrolled: 1-line block ×5, first 2 shown]
	v_add_f64 v[148:149], v[148:149], v[201:202]
	v_add_f64 v[146:147], v[146:147], v[203:204]
	;; [unrolled: 1-line block ×5, first 2 shown]
	v_mul_f64 v[199:200], v[162:163], s[22:23]
	v_mul_f64 v[201:202], v[162:163], s[14:15]
	v_add_f64 v[128:129], v[28:29], v[128:129]
	v_add_f64 v[120:121], v[0:1], v[120:121]
	;; [unrolled: 1-line block ×6, first 2 shown]
	v_mul_f64 v[104:105], v[162:163], s[6:7]
	v_add_f64 v[152:153], v[152:153], v[193:194]
	v_add_f64 v[154:155], v[154:155], v[195:196]
	v_add_f64 v[158:159], v[158:159], v[197:198]
	v_add_f64 v[150:151], v[160:161], v[150:151]
	v_add_f64 v[108:109], v[126:127], v[108:109]
	v_mul_f64 v[126:127], v[172:173], s[4:5]
	v_add_f64 v[160:161], v[168:169], v[201:202]
	v_add_f64 v[128:129], v[44:45], v[128:129]
	;; [unrolled: 1-line block ×7, first 2 shown]
	v_mul_f64 v[144:145], v[172:173], s[10:11]
	v_mul_f64 v[146:147], v[172:173], s[22:23]
	;; [unrolled: 1-line block ×4, first 2 shown]
	v_add_f64 v[104:105], v[156:157], v[104:105]
	v_add_f64 v[126:127], v[174:175], v[126:127]
	;; [unrolled: 1-line block ×8, first 2 shown]
	v_mul_f64 v[108:109], v[180:181], s[10:11]
	v_mul_f64 v[152:153], v[180:181], s[4:5]
	;; [unrolled: 1-line block ×3, first 2 shown]
	v_add_f64 v[146:147], v[178:179], v[146:147]
	v_add_f64 v[144:145], v[176:177], v[144:145]
	v_mul_f64 v[150:151], v[180:181], s[20:21]
	v_add_f64 v[112:113], v[112:113], v[124:125]
	v_add_f64 v[12:13], v[164:165], v[12:13]
	;; [unrolled: 1-line block ×9, first 2 shown]
	v_mul_f64 v[128:129], v[162:163], s[20:21]
	v_mul_f64 v[162:163], v[162:163], s[10:11]
	v_add_f64 v[118:119], v[144:145], v[118:119]
	v_add_f64 v[0:1], v[12:13], v[0:1]
	;; [unrolled: 1-line block ×6, first 2 shown]
	v_mul_f64 v[128:129], v[180:181], s[22:23]
	v_add_f64 v[0:1], v[108:109], v[0:1]
	v_add_nc_u32_e32 v109, 0x2508, v191
	v_add_nc_u32_e32 v108, 0x24f8, v191
	v_add_f64 v[122:123], v[52:53], v[122:123]
	v_add_f64 v[106:107], v[116:117], v[106:107]
	;; [unrolled: 1-line block ×11, first 2 shown]
	v_add_nc_u32_e32 v116, 0x2538, v191
	v_add_f64 v[12:13], v[104:105], v[114:115]
	v_add_f64 v[104:105], v[122:123], v[118:119]
	;; [unrolled: 1-line block ×4, first 2 shown]
	v_add_nc_u32_e32 v114, 0x2518, v191
	v_add_nc_u32_e32 v115, 0x2528, v191
	;; [unrolled: 1-line block ×3, first 2 shown]
	v_add_f64 v[112:113], v[32:33], v[112:113]
	ds_write2_b64 v109, v[142:143], v[140:141] offset1:1
	ds_write2_b64 v114, v[138:139], v[136:137] offset1:1
	;; [unrolled: 1-line block ×6, first 2 shown]
	ds_write_b64 v191, v[0:1] offset:9560
.LBB0_15:
	s_or_b32 exec_lo, exec_lo, s0
	v_lshlrev_b32_e32 v161, 3, v192
	v_lshlrev_b32_e32 v0, 3, v190
	s_waitcnt lgkmcnt(0)
	s_waitcnt_vscnt null, 0x0
	s_barrier
	buffer_gl0_inv
	v_cmp_gt_u32_e64 s0, 13, v190
	v_add3_u32 v159, 0, v0, v161
	v_add3_u32 v158, 0, v161, v0
	v_add_nc_u32_e32 v0, 0x800, v159
	v_add_nc_u32_e32 v1, 0xc00, v159
	;; [unrolled: 1-line block ×5, first 2 shown]
	ds_read2_b64 v[104:107], v159 offset0:91 offset1:195
	ds_read2_b64 v[120:123], v0 offset0:30 offset1:134
	ds_read2_b64 v[116:119], v1 offset0:97 offset1:201
	ds_read2_b64 v[112:115], v12 offset0:36 offset1:140
	ds_read2_b64 v[108:111], v13 offset0:103 offset1:207
	ds_read2_b64 v[124:127], v124 offset0:42 offset1:146
	ds_read_b64 v[144:145], v158
	ds_read_b64 v[146:147], v159 offset:10088
	s_and_saveexec_b32 s4, s0
	s_cbranch_execz .LBB0_17
; %bb.16:
	v_add_nc_u32_e32 v0, 0x1e00, v159
	v_add_nc_u32_e32 v1, 0x1000, v159
	;; [unrolled: 1-line block ×3, first 2 shown]
	ds_read2_b64 v[136:139], v0 offset0:2 offset1:197
	ds_read2_b64 v[140:143], v1 offset0:60 offset1:255
	;; [unrolled: 1-line block ×3, first 2 shown]
	ds_read_b64 v[132:133], v159 offset:10816
	s_waitcnt lgkmcnt(3)
	v_mov_b32_e32 v134, v138
	v_mov_b32_e32 v135, v139
	s_waitcnt lgkmcnt(2)
	v_mov_b32_e32 v138, v142
	v_mov_b32_e32 v139, v143
	;; [unrolled: 3-line block ×3, first 2 shown]
	v_mov_b32_e32 v143, v151
	v_mov_b32_e32 v131, v149
.LBB0_17:
	s_or_b32 exec_lo, exec_lo, s4
	v_add_f64 v[0:1], v[102:103], v[14:15]
	v_add_f64 v[12:13], v[100:101], -v[4:5]
	v_add_f64 v[8:9], v[8:9], -v[32:33]
	s_mov_b32 s44, 0x4267c47c
	s_mov_b32 s22, 0x42a4c3d2
	;; [unrolled: 1-line block ×12, first 2 shown]
	v_add_f64 v[56:57], v[96:97], -v[56:57]
	v_add_f64 v[96:97], v[74:75], v[94:95]
	v_add_f64 v[24:25], v[24:25], -v[36:37]
	v_add_f64 v[28:29], v[28:29], -v[48:49]
	v_add_f64 v[102:103], v[6:7], v[102:103]
	s_mov_b32 s4, 0xe00740e9
	s_mov_b32 s6, 0x1ea71119
	v_add_f64 v[4:5], v[98:99], v[0:1]
	v_mul_f64 v[36:37], v[12:13], s[44:45]
	v_mul_f64 v[48:49], v[12:13], s[22:23]
	v_mul_f64 v[128:129], v[12:13], s[20:21]
	v_mul_f64 v[148:149], v[12:13], s[24:25]
	v_mul_f64 v[150:151], v[12:13], s[26:27]
	s_mov_b32 s10, 0xb2365da1
	s_mov_b32 s16, 0xd0032e0c
	;; [unrolled: 1-line block ×8, first 2 shown]
	v_add_f64 v[98:99], v[58:59], v[98:99]
	v_add_f64 v[72:73], v[92:93], -v[72:73]
	v_mul_f64 v[152:153], v[56:57], s[22:23]
	v_mul_f64 v[154:155], v[56:57], s[20:21]
	s_mov_b32 s39, 0x3fe5384d
	s_mov_b32 s29, 0x3fefc445
	;; [unrolled: 1-line block ×4, first 2 shown]
	v_add_f64 v[32:33], v[94:95], v[4:5]
	v_mul_f64 v[94:95], v[12:13], s[30:31]
	v_fma_f64 v[208:209], v[102:103], s[4:5], v[36:37]
	v_fma_f64 v[36:37], v[102:103], s[4:5], -v[36:37]
	v_fma_f64 v[210:211], v[102:103], s[6:7], v[48:49]
	v_fma_f64 v[48:49], v[102:103], s[6:7], -v[48:49]
	;; [unrolled: 2-line block ×4, first 2 shown]
	v_fma_f64 v[218:219], v[102:103], s[18:19], v[150:151]
	s_mov_b32 s28, s30
	s_mov_b32 s34, s44
	v_add_f64 v[80:81], v[84:85], -v[80:81]
	v_mul_f64 v[156:157], v[56:57], s[26:27]
	v_mul_f64 v[162:163], v[56:57], s[38:39]
	v_mul_f64 v[164:165], v[56:57], s[28:29]
	v_mul_f64 v[166:167], v[56:57], s[34:35]
	v_mul_f64 v[168:169], v[72:73], s[26:27]
	v_fma_f64 v[220:221], v[98:99], s[10:11], v[154:155]
	v_fma_f64 v[154:155], v[98:99], s[10:11], -v[154:155]
	s_mov_b32 s43, 0x3fedeba7
	v_add_f64 v[12:13], v[86:87], v[32:33]
	v_fma_f64 v[212:213], v[102:103], s[14:15], v[94:95]
	v_fma_f64 v[94:95], v[102:103], s[14:15], -v[94:95]
	v_fma_f64 v[102:103], v[102:103], s[18:19], -v[150:151]
	v_mul_f64 v[32:33], v[72:73], s[30:31]
	v_add_f64 v[208:209], v[14:15], v[208:209]
	v_add_f64 v[36:37], v[14:15], v[36:37]
	;; [unrolled: 1-line block ×4, first 2 shown]
	s_mov_b32 s42, s20
	v_add_f64 v[92:93], v[82:83], v[86:87]
	v_add_f64 v[100:101], v[90:91], v[78:79]
	v_add_f64 v[76:77], v[76:77], -v[88:89]
	v_mul_f64 v[170:171], v[72:73], s[42:43]
	v_mul_f64 v[172:173], v[72:73], s[34:35]
	;; [unrolled: 1-line block ×6, first 2 shown]
	v_fma_f64 v[222:223], v[98:99], s[18:19], v[156:157]
	v_fma_f64 v[156:157], v[98:99], s[18:19], -v[156:157]
	v_fma_f64 v[224:225], v[98:99], s[16:17], v[162:163]
	v_add_f64 v[204:205], v[78:79], v[12:13]
	v_fma_f64 v[162:163], v[98:99], s[16:17], -v[162:163]
	v_fma_f64 v[226:227], v[98:99], s[14:15], v[164:165]
	v_fma_f64 v[164:165], v[98:99], s[14:15], -v[164:165]
	v_fma_f64 v[228:229], v[98:99], s[4:5], v[166:167]
	v_fma_f64 v[230:231], v[96:97], s[18:19], v[168:169]
	v_fma_f64 v[168:169], v[96:97], s[18:19], -v[168:169]
	v_add_f64 v[212:213], v[14:15], v[212:213]
	v_add_f64 v[94:95], v[14:15], v[94:95]
	;; [unrolled: 1-line block ×9, first 2 shown]
	s_mov_b32 s41, 0x3fcea1e5
	s_mov_b32 s37, 0x3fea55e2
	s_mov_b32 s40, s26
	s_mov_b32 s36, s22
	v_add_f64 v[0:1], v[34:35], v[10:11]
	v_mul_f64 v[182:183], v[80:81], s[34:35]
	v_add_f64 v[150:151], v[22:23], v[204:205]
	v_fma_f64 v[204:205], v[98:99], s[6:7], v[152:153]
	v_fma_f64 v[152:153], v[98:99], s[6:7], -v[152:153]
	v_fma_f64 v[98:99], v[98:99], s[4:5], -v[166:167]
	v_fma_f64 v[166:167], v[96:97], s[14:15], v[32:33]
	v_fma_f64 v[32:33], v[96:97], s[14:15], -v[32:33]
	v_mul_f64 v[184:185], v[80:81], s[30:31]
	v_mul_f64 v[186:187], v[80:81], s[40:41]
	;; [unrolled: 1-line block ×15, first 2 shown]
	v_fma_f64 v[232:233], v[96:97], s[10:11], v[170:171]
	v_add_f64 v[150:151], v[18:19], v[150:151]
	v_add_f64 v[102:103], v[204:205], v[208:209]
	;; [unrolled: 1-line block ×4, first 2 shown]
	v_fma_f64 v[170:171], v[96:97], s[10:11], -v[170:171]
	v_fma_f64 v[234:235], v[96:97], s[4:5], v[172:173]
	v_fma_f64 v[172:173], v[96:97], s[4:5], -v[172:173]
	v_fma_f64 v[236:237], v[96:97], s[6:7], v[174:175]
	;; [unrolled: 2-line block ×4, first 2 shown]
	v_fma_f64 v[178:179], v[92:93], s[10:11], -v[178:179]
	v_fma_f64 v[154:155], v[92:93], s[16:17], -v[180:181]
	v_add_f64 v[212:213], v[222:223], v[212:213]
	v_add_f64 v[94:95], v[156:157], v[94:95]
	;; [unrolled: 1-line block ×9, first 2 shown]
	v_fma_f64 v[150:151], v[92:93], s[16:17], v[180:181]
	v_add_f64 v[98:99], v[166:167], v[102:103]
	v_add_f64 v[32:33], v[32:33], v[36:37]
	;; [unrolled: 1-line block ×3, first 2 shown]
	v_mul_f64 v[78:79], v[24:25], s[22:23]
	v_mul_f64 v[72:73], v[24:25], s[20:21]
	;; [unrolled: 1-line block ×6, first 2 shown]
	v_fma_f64 v[180:181], v[92:93], s[4:5], v[182:183]
	v_fma_f64 v[182:183], v[92:93], s[4:5], -v[182:183]
	v_fma_f64 v[204:205], v[92:93], s[14:15], v[184:185]
	v_fma_f64 v[184:185], v[92:93], s[14:15], -v[184:185]
	;; [unrolled: 2-line block ×3, first 2 shown]
	v_fma_f64 v[210:211], v[92:93], s[6:7], v[188:189]
	v_add_f64 v[162:163], v[226:227], v[216:217]
	v_fma_f64 v[102:103], v[100:101], s[16:17], -v[192:193]
	v_fma_f64 v[152:153], v[100:101], s[14:15], v[194:195]
	v_fma_f64 v[166:167], v[100:101], s[14:15], -v[194:195]
	v_add_f64 v[82:83], v[82:83], v[90:91]
	v_fma_f64 v[90:91], v[92:93], s[6:7], -v[188:189]
	v_fma_f64 v[92:93], v[100:101], s[16:17], v[192:193]
	v_fma_f64 v[188:189], v[0:1], s[4:5], v[76:77]
	;; [unrolled: 1-line block ×4, first 2 shown]
	v_add_f64 v[212:213], v[232:233], v[212:213]
	v_add_f64 v[94:95], v[170:171], v[94:95]
	;; [unrolled: 1-line block ×10, first 2 shown]
	v_fma_f64 v[98:99], v[0:1], s[16:17], v[84:85]
	v_fma_f64 v[150:151], v[0:1], s[18:19], v[206:207]
	v_fma_f64 v[154:155], v[0:1], s[18:19], -v[206:207]
	v_add_f64 v[164:165], v[228:229], v[218:219]
	v_fma_f64 v[168:169], v[100:101], s[6:7], v[196:197]
	v_add_f64 v[162:163], v[236:237], v[162:163]
	v_add_f64 v[74:75], v[74:75], v[82:83]
	v_fma_f64 v[82:83], v[0:1], s[10:11], v[86:87]
	v_fma_f64 v[170:171], v[100:101], s[6:7], -v[196:197]
	v_fma_f64 v[172:173], v[100:101], s[18:19], v[198:199]
	v_add_f64 v[174:175], v[2:3], v[188:189]
	v_add_f64 v[176:177], v[2:3], v[192:193]
	;; [unrolled: 1-line block ×16, first 2 shown]
	v_fma_f64 v[152:153], v[4:5], s[6:7], v[78:79]
	v_fma_f64 v[154:155], v[4:5], s[10:11], v[72:73]
	v_add_f64 v[166:167], v[58:59], v[74:75]
	v_add_f64 v[96:97], v[2:3], v[82:83]
	v_fma_f64 v[186:187], v[4:5], s[18:19], v[56:57]
	v_fma_f64 v[188:189], v[4:5], s[16:17], v[12:13]
	;; [unrolled: 1-line block ×4, first 2 shown]
	v_fma_f64 v[24:25], v[4:5], s[4:5], -v[24:25]
	v_add_f64 v[92:93], v[50:51], v[30:31]
	v_mul_f64 v[14:15], v[28:29], s[30:31]
	v_mul_f64 v[58:59], v[28:29], s[26:27]
	;; [unrolled: 1-line block ×6, first 2 shown]
	v_add_f64 v[44:45], v[44:45], -v[52:53]
	v_add_f64 v[164:165], v[238:239], v[164:165]
	v_add_f64 v[162:163], v[208:209], v[162:163]
	;; [unrolled: 1-line block ×5, first 2 shown]
	v_fma_f64 v[156:157], v[100:101], s[18:19], -v[198:199]
	v_fma_f64 v[180:181], v[100:101], s[4:5], v[200:201]
	v_fma_f64 v[196:197], v[100:101], s[4:5], -v[200:201]
	v_add_f64 v[200:201], v[20:21], -v[16:17]
	v_add_f64 v[152:153], v[152:153], v[174:175]
	v_add_f64 v[154:155], v[154:155], v[176:177]
	;; [unrolled: 1-line block ×7, first 2 shown]
	v_fma_f64 v[150:151], v[92:93], s[14:15], v[14:15]
	v_fma_f64 v[186:187], v[92:93], s[18:19], v[58:59]
	;; [unrolled: 1-line block ×6, first 2 shown]
	v_fma_f64 v[28:29], v[92:93], s[16:17], -v[28:29]
	v_add_f64 v[98:99], v[54:55], v[46:47]
	v_mul_f64 v[16:17], v[44:45], s[20:21]
	v_mul_f64 v[20:21], v[44:45], s[38:39]
	;; [unrolled: 1-line block ×6, first 2 shown]
	v_add_f64 v[40:41], v[40:41], -v[64:65]
	v_add_f64 v[164:165], v[210:211], v[164:165]
	v_fma_f64 v[198:199], v[100:101], s[10:11], v[202:203]
	v_add_f64 v[128:129], v[156:157], v[128:129]
	v_add_f64 v[162:163], v[180:181], v[162:163]
	;; [unrolled: 1-line block ×3, first 2 shown]
	v_fma_f64 v[156:157], v[100:101], s[10:11], -v[202:203]
	v_add_f64 v[196:197], v[18:19], v[22:23]
	v_add_f64 v[150:151], v[150:151], v[152:153]
	;; [unrolled: 1-line block ×9, first 2 shown]
	v_fma_f64 v[28:29], v[98:99], s[10:11], v[16:17]
	v_fma_f64 v[186:187], v[98:99], s[16:17], v[20:21]
	v_fma_f64 v[188:189], v[98:99], s[4:5], v[52:53]
	v_fma_f64 v[192:193], v[98:99], s[14:15], v[94:95]
	v_fma_f64 v[194:195], v[98:99], s[18:19], v[96:97]
	v_fma_f64 v[204:205], v[98:99], s[6:7], v[44:45]
	v_fma_f64 v[44:45], v[98:99], s[6:7], -v[44:45]
	v_mul_f64 v[18:19], v[40:41], s[24:25]
	v_mul_f64 v[22:23], v[40:41], s[28:29]
	;; [unrolled: 1-line block ×6, first 2 shown]
	v_add_f64 v[208:209], v[68:69], -v[60:61]
	v_add_f64 v[164:165], v[198:199], v[164:165]
	v_mul_f64 v[198:199], v[200:201], s[26:27]
	v_mul_f64 v[202:203], v[200:201], s[34:35]
	v_add_f64 v[182:183], v[156:157], v[182:183]
	v_mul_f64 v[212:213], v[200:201], s[24:25]
	v_mul_f64 v[214:215], v[200:201], s[36:37]
	;; [unrolled: 1-line block ×4, first 2 shown]
	v_add_f64 v[28:29], v[28:29], v[150:151]
	v_add_f64 v[186:187], v[186:187], v[152:153]
	;; [unrolled: 1-line block ×7, first 2 shown]
	v_fma_f64 v[44:45], v[148:149], s[16:17], v[18:19]
	v_fma_f64 v[192:193], v[148:149], s[14:15], v[22:23]
	;; [unrolled: 1-line block ×6, first 2 shown]
	v_fma_f64 v[40:41], v[148:149], s[10:11], -v[40:41]
	v_add_f64 v[156:157], v[62:63], v[70:71]
	v_mul_f64 v[150:151], v[208:209], s[26:27]
	v_mul_f64 v[154:155], v[208:209], s[34:35]
	;; [unrolled: 1-line block ×6, first 2 shown]
	v_fma_f64 v[206:207], v[196:197], s[18:19], v[198:199]
	v_fma_f64 v[198:199], v[196:197], s[18:19], -v[198:199]
	v_fma_f64 v[210:211], v[196:197], s[4:5], v[202:203]
	v_fma_f64 v[202:203], v[196:197], s[4:5], -v[202:203]
	;; [unrolled: 2-line block ×6, first 2 shown]
	v_add_f64 v[28:29], v[44:45], v[28:29]
	v_add_f64 v[44:45], v[192:193], v[186:187]
	;; [unrolled: 1-line block ×7, first 2 shown]
	v_fma_f64 v[40:41], v[156:157], s[18:19], v[150:151]
	v_fma_f64 v[188:189], v[156:157], s[4:5], v[154:155]
	;; [unrolled: 1-line block ×6, first 2 shown]
	v_fma_f64 v[208:209], v[156:157], s[14:15], -v[208:209]
	v_add_f64 v[6:7], v[6:7], v[166:167]
	v_add_f64 v[166:167], v[206:207], v[184:185]
	;; [unrolled: 1-line block ×13, first 2 shown]
	v_add_nc_u32_e32 v160, 0x5b, v190
	s_waitcnt lgkmcnt(0)
	v_add_f64 v[28:29], v[40:41], v[28:29]
	v_add_f64 v[48:49], v[188:189], v[44:45]
	;; [unrolled: 1-line block ×7, first 2 shown]
	s_barrier
	buffer_gl0_inv
	ds_write2_b64 v191, v[6:7], v[166:167] offset1:1
	ds_write2_b64 v191, v[198:199], v[168:169] offset0:2 offset1:3
	ds_write2_b64 v191, v[172:173], v[162:163] offset0:4 offset1:5
	ds_write2_b64 v191, v[164:165], v[182:183] offset0:6 offset1:7
	ds_write2_b64 v191, v[180:181], v[128:129] offset0:8 offset1:9
	ds_write2_b64 v191, v[170:171], v[202:203] offset0:10 offset1:11
	ds_write_b64 v191, v[184:185] offset:96
	s_and_saveexec_b32 s20, s1
	s_cbranch_execz .LBB0_19
; %bb.18:
	v_add_f64 v[6:7], v[10:11], v[2:3]
	v_mul_f64 v[10:11], v[0:1], s[6:7]
	v_mul_f64 v[128:129], v[4:5], s[10:11]
	;; [unrolled: 1-line block ×4, first 2 shown]
	v_add_f64 v[6:7], v[26:27], v[6:7]
	v_mul_f64 v[26:27], v[0:1], s[10:11]
	v_add_f64 v[10:11], v[10:11], -v[88:89]
	v_add_f64 v[72:73], v[128:129], -v[72:73]
	;; [unrolled: 1-line block ×4, first 2 shown]
	v_mul_f64 v[88:89], v[98:99], s[18:19]
	v_add_f64 v[6:7], v[30:31], v[6:7]
	v_mul_f64 v[30:31], v[0:1], s[16:17]
	v_add_f64 v[26:27], v[26:27], -v[86:87]
	v_mul_f64 v[86:87], v[92:93], s[6:7]
	v_add_f64 v[6:7], v[46:47], v[6:7]
	v_mul_f64 v[46:47], v[0:1], s[14:15]
	v_mul_f64 v[0:1], v[0:1], s[4:5]
	v_add_f64 v[30:31], v[30:31], -v[84:85]
	v_mul_f64 v[84:85], v[92:93], s[4:5]
	v_add_f64 v[6:7], v[42:43], v[6:7]
	v_mul_f64 v[42:43], v[4:5], s[6:7]
	v_mul_f64 v[4:5], v[4:5], s[14:15]
	v_add_f64 v[46:47], v[46:47], -v[80:81]
	v_add_f64 v[0:1], v[0:1], -v[76:77]
	v_mul_f64 v[76:77], v[92:93], s[18:19]
	v_mul_f64 v[80:81], v[92:93], s[10:11]
	v_add_f64 v[6:7], v[70:71], v[6:7]
	v_mul_f64 v[70:71], v[92:93], s[14:15]
	v_add_f64 v[4:5], v[4:5], -v[8:9]
	v_add_f64 v[8:9], v[2:3], v[10:11]
	v_add_f64 v[10:11], v[2:3], v[26:27]
	;; [unrolled: 1-line block ×4, first 2 shown]
	v_add_f64 v[42:43], v[42:43], -v[78:79]
	v_add_f64 v[0:1], v[2:3], v[0:1]
	v_mul_f64 v[2:3], v[98:99], s[10:11]
	v_mul_f64 v[46:47], v[98:99], s[16:17]
	;; [unrolled: 1-line block ×3, first 2 shown]
	v_add_f64 v[58:59], v[76:77], -v[58:59]
	v_add_f64 v[76:77], v[86:87], -v[90:91]
	v_add_f64 v[6:7], v[62:63], v[6:7]
	v_mul_f64 v[62:63], v[98:99], s[4:5]
	v_add_f64 v[14:15], v[70:71], -v[14:15]
	v_add_f64 v[70:71], v[80:81], -v[74:75]
	;; [unrolled: 1-line block ×3, first 2 shown]
	v_add_f64 v[10:11], v[12:13], v[10:11]
	v_add_f64 v[4:5], v[4:5], v[26:27]
	;; [unrolled: 1-line block ×5, first 2 shown]
	v_mul_f64 v[26:27], v[148:149], s[16:17]
	v_mul_f64 v[30:31], v[148:149], s[14:15]
	;; [unrolled: 1-line block ×4, first 2 shown]
	v_add_f64 v[2:3], v[2:3], -v[16:17]
	v_add_f64 v[16:17], v[46:47], -v[20:21]
	v_add_f64 v[46:47], v[78:79], -v[94:95]
	v_add_f64 v[6:7], v[66:67], v[6:7]
	v_mul_f64 v[66:67], v[148:149], s[4:5]
	v_add_f64 v[20:21], v[62:63], -v[52:53]
	v_add_f64 v[52:53], v[88:89], -v[96:97]
	v_mul_f64 v[62:63], v[156:157], s[6:7]
	v_add_f64 v[10:11], v[74:75], v[10:11]
	v_add_f64 v[4:5], v[76:77], v[4:5]
	;; [unrolled: 1-line block ×5, first 2 shown]
	v_mul_f64 v[70:71], v[156:157], s[10:11]
	v_add_f64 v[18:19], v[26:27], -v[18:19]
	v_add_f64 v[22:23], v[30:31], -v[22:23]
	;; [unrolled: 1-line block ×4, first 2 shown]
	v_mul_f64 v[14:15], v[156:157], s[18:19]
	v_mul_f64 v[58:59], v[156:157], s[16:17]
	v_add_f64 v[6:7], v[54:55], v[6:7]
	v_add_f64 v[42:43], v[66:67], -v[102:103]
	v_mul_f64 v[54:55], v[156:157], s[4:5]
	v_add_f64 v[10:11], v[46:47], v[10:11]
	v_add_f64 v[4:5], v[52:53], v[4:5]
	;; [unrolled: 1-line block ×5, first 2 shown]
	v_add_f64 v[20:21], v[62:63], -v[68:69]
	v_add_f64 v[46:47], v[70:71], -v[60:61]
	;; [unrolled: 1-line block ×4, first 2 shown]
	v_add_f64 v[6:7], v[50:51], v[6:7]
	v_add_f64 v[14:15], v[54:55], -v[154:155]
	v_add_f64 v[10:11], v[30:31], v[10:11]
	v_add_f64 v[4:5], v[42:43], v[4:5]
	;; [unrolled: 1-line block ×11, first 2 shown]
	v_mul_u32_u24_e32 v2, 0x68, v160
	v_add3_u32 v2, 0, v2, v161
	v_add_f64 v[6:7], v[34:35], v[6:7]
	ds_write2_b64 v2, v[48:49], v[44:45] offset0:2 offset1:3
	ds_write2_b64 v2, v[40:41], v[36:37] offset0:4 offset1:5
	;; [unrolled: 1-line block ×5, first 2 shown]
	ds_write2_b64 v2, v[6:7], v[28:29] offset1:1
	ds_write_b64 v2, v[0:1] offset:96
.LBB0_19:
	s_or_b32 exec_lo, exec_lo, s20
	v_add_nc_u32_e32 v4, 0x800, v159
	v_add_nc_u32_e32 v8, 0xc00, v159
	;; [unrolled: 1-line block ×5, first 2 shown]
	s_waitcnt lgkmcnt(0)
	s_barrier
	buffer_gl0_inv
	ds_read2_b64 v[0:3], v159 offset0:91 offset1:195
	ds_read2_b64 v[4:7], v4 offset0:30 offset1:134
	;; [unrolled: 1-line block ×6, first 2 shown]
	ds_read_b64 v[26:27], v158
	ds_read_b64 v[56:57], v159 offset:10088
	s_and_saveexec_b32 s1, s0
	s_cbranch_execz .LBB0_21
; %bb.20:
	v_add_nc_u32_e32 v24, 0x1e00, v159
	v_add_nc_u32_e32 v25, 0x1000, v159
	;; [unrolled: 1-line block ×3, first 2 shown]
	ds_read2_b64 v[28:31], v24 offset0:2 offset1:197
	ds_read2_b64 v[38:41], v25 offset0:60 offset1:255
	;; [unrolled: 1-line block ×3, first 2 shown]
	ds_read_b64 v[24:25], v159 offset:10816
	s_waitcnt lgkmcnt(3)
	v_mov_b32_e32 v37, v29
	v_mov_b32_e32 v33, v31
	;; [unrolled: 1-line block ×3, first 2 shown]
	s_waitcnt lgkmcnt(2)
	v_mov_b32_e32 v45, v39
	s_waitcnt lgkmcnt(1)
	v_mov_b32_e32 v28, v46
	v_mov_b32_e32 v32, v30
	;; [unrolled: 1-line block ×4, first 2 shown]
.LBB0_21:
	s_or_b32 exec_lo, exec_lo, s1
	v_and_b32_e32 v30, 0xff, v190
	v_and_b32_e32 v31, 0xff, v160
	v_add_nc_u32_e32 v80, 0xb6, v190
	s_mov_b32 s20, 0x37e14327
	s_mov_b32 s4, 0x36b3c0b5
	v_mul_lo_u16 v30, 0x4f, v30
	s_mov_b32 s22, 0xe976ee23
	s_mov_b32 s6, 0x429ad128
	;; [unrolled: 1-line block ×4, first 2 shown]
	v_lshrrev_b16 v191, 10, v30
	v_mul_lo_u16 v30, 0x4f, v31
	s_mov_b32 s23, 0xbfe11646
	s_mov_b32 s7, 0x3febfeb5
	;; [unrolled: 1-line block ×3, first 2 shown]
	v_mul_lo_u16 v31, v191, 13
	v_lshrrev_b16 v192, 10, v30
	v_mov_b32_e32 v30, 6
	s_mov_b32 s14, 0x5476071b
	s_mov_b32 s24, 0xb247c609
	v_sub_nc_u16 v193, v190, v31
	v_mul_lo_u16 v31, v192, 13
	s_mov_b32 s11, 0xbff2aaaa
	s_mov_b32 s15, 0x3fe77f67
	;; [unrolled: 1-line block ×3, first 2 shown]
	v_mul_u32_u24_sdwa v34, v193, v30 dst_sel:DWORD dst_unused:UNUSED_PAD src0_sel:BYTE_0 src1_sel:DWORD
	v_sub_nc_u16 v194, v160, v31
	s_mov_b32 s25, 0x3fd5d0dc
	s_mov_b32 s27, 0xbfd5d0dc
	s_mov_b32 s18, s14
	v_lshlrev_b32_e32 v31, 4, v34
	v_mul_u32_u24_sdwa v34, v194, v30 dst_sel:DWORD dst_unused:UNUSED_PAD src0_sel:BYTE_0 src1_sel:DWORD
	s_mov_b32 s26, s24
	s_mov_b32 s16, 0x37c3f68c
	;; [unrolled: 1-line block ×3, first 2 shown]
	s_clause 0x1
	global_load_dwordx4 v[58:61], v31, s[8:9] offset:16
	global_load_dwordx4 v[62:65], v31, s[8:9]
	v_lshlrev_b32_e32 v34, 4, v34
	s_clause 0x9
	global_load_dwordx4 v[66:69], v31, s[8:9] offset:80
	global_load_dwordx4 v[70:73], v31, s[8:9] offset:64
	global_load_dwordx4 v[74:77], v34, s[8:9]
	global_load_dwordx4 v[82:85], v34, s[8:9] offset:16
	global_load_dwordx4 v[86:89], v34, s[8:9] offset:80
	;; [unrolled: 1-line block ×7, first 2 shown]
	v_mov_b32_e32 v31, 0x4ec5
	v_mul_u32_u24_sdwa v31, v80, v31 dst_sel:DWORD dst_unused:UNUSED_PAD src0_sel:WORD_0 src1_sel:DWORD
	v_lshrrev_b32_e32 v31, 18, v31
	v_mul_lo_u16 v31, v31, 13
	v_sub_nc_u16 v81, v80, v31
	v_mul_u32_u24_sdwa v30, v81, v30 dst_sel:DWORD dst_unused:UNUSED_PAD src0_sel:WORD_0 src1_sel:DWORD
	v_lshlrev_b32_e32 v30, 4, v30
	s_clause 0x5
	global_load_dwordx4 v[162:165], v30, s[8:9]
	global_load_dwordx4 v[166:169], v30, s[8:9] offset:16
	global_load_dwordx4 v[170:173], v30, s[8:9] offset:32
	;; [unrolled: 1-line block ×5, first 2 shown]
	s_waitcnt vmcnt(0) lgkmcnt(0)
	s_barrier
	buffer_gl0_inv
	v_mul_f64 v[38:39], v[22:23], v[68:69]
	v_mul_f64 v[46:47], v[10:11], v[72:73]
	;; [unrolled: 1-line block ×22, first 2 shown]
	v_fma_f64 v[38:39], v[126:127], v[66:67], -v[38:39]
	v_fma_f64 v[50:51], v[110:111], v[70:71], -v[46:47]
	v_mul_f64 v[88:89], v[146:147], v[88:89]
	v_fma_f64 v[42:43], v[122:123], v[58:59], -v[34:35]
	v_fma_f64 v[30:31], v[106:107], v[62:63], -v[30:31]
	v_mul_f64 v[106:107], v[108:109], v[154:155]
	v_fma_f64 v[34:35], v[120:121], v[74:75], -v[52:53]
	v_fma_f64 v[52:53], v[116:117], v[82:83], -v[54:55]
	;; [unrolled: 1-line block ×4, first 2 shown]
	v_fma_f64 v[60:61], v[2:3], v[62:63], v[64:65]
	v_fma_f64 v[58:59], v[6:7], v[58:59], v[78:79]
	v_fma_f64 v[2:3], v[118:119], v[94:95], -v[128:129]
	v_fma_f64 v[18:19], v[18:19], v[94:95], v[96:97]
	v_fma_f64 v[6:7], v[114:115], v[98:99], -v[156:157]
	v_fma_f64 v[14:15], v[14:15], v[98:99], v[100:101]
	v_fma_f64 v[62:63], v[10:11], v[70:71], v[72:73]
	;; [unrolled: 1-line block ×4, first 2 shown]
	v_fma_f64 v[10:11], v[112:113], v[148:149], -v[186:187]
	v_fma_f64 v[12:13], v[12:13], v[148:149], v[150:151]
	v_fma_f64 v[20:21], v[20:21], v[90:91], v[92:93]
	v_fma_f64 v[22:23], v[108:109], v[152:153], -v[188:189]
	v_fma_f64 v[4:5], v[4:5], v[74:75], v[76:77]
	v_fma_f64 v[56:57], v[56:57], v[86:87], v[88:89]
	v_add_f64 v[68:69], v[42:43], v[50:51]
	v_add_f64 v[66:67], v[30:31], v[38:39]
	v_fma_f64 v[8:9], v[8:9], v[152:153], v[106:107]
	v_mul_f64 v[118:119], v[48:49], v[164:165]
	v_mul_f64 v[120:121], v[136:137], v[176:177]
	v_add_f64 v[70:71], v[34:35], v[46:47]
	v_add_f64 v[72:73], v[52:53], v[54:55]
	v_mul_f64 v[122:123], v[32:33], v[180:181]
	v_mul_f64 v[124:125], v[134:135], v[180:181]
	;; [unrolled: 1-line block ×4, first 2 shown]
	v_add_f64 v[74:75], v[2:3], v[6:7]
	v_add_f64 v[78:79], v[14:15], -v[18:19]
	v_add_f64 v[76:77], v[58:59], -v[62:63]
	;; [unrolled: 1-line block ×3, first 2 shown]
	v_and_b32_e32 v148, 0xffff, v191
	v_and_b32_e32 v149, 0xffff, v192
	v_add_f64 v[84:85], v[16:17], -v[20:21]
	v_add_f64 v[88:89], v[10:11], v[22:23]
	v_add_f64 v[92:93], v[4:5], -v[56:57]
	v_add_f64 v[86:87], v[68:69], v[66:67]
	;; [unrolled: 2-line block ×3, first 2 shown]
	v_add_f64 v[96:97], v[66:67], -v[74:75]
	v_add_f64 v[98:99], v[74:75], -v[68:69]
	v_add_f64 v[100:101], v[78:79], -v[76:77]
	v_add_f64 v[102:103], v[76:77], -v[82:83]
	v_add_f64 v[66:67], v[68:69], -v[66:67]
	v_add_f64 v[68:69], v[78:79], v[76:77]
	v_add_f64 v[76:77], v[82:83], -v[78:79]
	v_add_f64 v[108:109], v[84:85], -v[92:93]
	v_add_f64 v[74:75], v[74:75], v[86:87]
	v_add_f64 v[86:87], v[70:71], -v[88:89]
	v_add_f64 v[106:107], v[90:91], -v[84:85]
	v_add_f64 v[78:79], v[90:91], v[84:85]
	v_add_f64 v[90:91], v[92:93], -v[90:91]
	v_add_f64 v[94:95], v[88:89], v[94:95]
	v_add_f64 v[88:89], v[88:89], -v[72:73]
	v_add_f64 v[70:71], v[72:73], -v[70:71]
	v_mov_b32_e32 v84, 3
	v_mul_f64 v[96:97], v[96:97], s[20:21]
	v_mul_f64 v[110:111], v[98:99], s[4:5]
	;; [unrolled: 1-line block ×4, first 2 shown]
	v_add_f64 v[68:69], v[68:69], v[82:83]
	v_mul_f64 v[72:73], v[108:109], s[6:7]
	v_add_f64 v[114:115], v[144:145], v[74:75]
	v_mul_f64 v[85:86], v[86:87], s[20:21]
	v_mul_f64 v[106:107], v[106:107], s[22:23]
	v_add_f64 v[78:79], v[78:79], v[92:93]
	v_add_f64 v[104:105], v[104:105], v[94:95]
	v_mul_f64 v[116:117], v[88:89], s[4:5]
	v_fma_f64 v[82:83], v[98:99], s[4:5], v[96:97]
	v_fma_f64 v[92:93], v[66:67], s[14:15], -v[110:111]
	v_fma_f64 v[98:99], v[76:77], s[24:25], v[100:101]
	v_fma_f64 v[100:101], v[102:103], s[6:7], -v[100:101]
	v_fma_f64 v[66:67], v[66:67], s[18:19], -v[96:97]
	v_fma_f64 v[76:77], v[76:77], s[26:27], -v[112:113]
	v_mul_f64 v[110:111], v[40:41], v[172:173]
	v_mul_f64 v[112:113], v[138:139], v[172:173]
	v_fma_f64 v[72:73], v[90:91], s[26:27], -v[72:73]
	v_fma_f64 v[74:75], v[74:75], s[10:11], v[114:115]
	v_fma_f64 v[87:88], v[88:89], s[4:5], v[85:86]
	;; [unrolled: 1-line block ×3, first 2 shown]
	v_fma_f64 v[102:103], v[108:109], s[6:7], -v[106:107]
	v_fma_f64 v[85:86], v[70:71], s[18:19], -v[85:86]
	v_fma_f64 v[89:90], v[94:95], s[10:11], v[104:105]
	v_fma_f64 v[70:71], v[70:71], s[14:15], -v[116:117]
	v_mul_f64 v[94:95], v[142:143], v[164:165]
	v_mul_f64 v[106:107], v[44:45], v[168:169]
	;; [unrolled: 1-line block ×4, first 2 shown]
	v_fma_f64 v[36:37], v[36:37], v[174:175], v[120:121]
	v_fma_f64 v[98:99], v[68:69], s[16:17], v[98:99]
	;; [unrolled: 1-line block ×5, first 2 shown]
	v_fma_f64 v[32:33], v[132:133], v[182:183], -v[126:127]
	v_add_f64 v[82:83], v[82:83], v[74:75]
	v_add_f64 v[144:145], v[66:67], v[74:75]
	v_fma_f64 v[96:97], v[78:79], s[16:17], v[96:97]
	v_fma_f64 v[102:103], v[78:79], s[16:17], v[102:103]
	;; [unrolled: 1-line block ×3, first 2 shown]
	v_add_f64 v[85:86], v[85:86], v[89:90]
	v_add_f64 v[91:92], v[92:93], v[74:75]
	;; [unrolled: 1-line block ×4, first 2 shown]
	v_fma_f64 v[66:67], v[142:143], v[162:163], -v[118:119]
	v_fma_f64 v[68:69], v[48:49], v[162:163], v[94:95]
	v_fma_f64 v[48:49], v[140:141], v[166:167], -v[106:107]
	v_fma_f64 v[70:71], v[44:45], v[166:167], v[108:109]
	v_fma_f64 v[44:45], v[138:139], v[170:171], -v[110:111]
	v_fma_f64 v[72:73], v[40:41], v[170:171], v[112:113]
	v_fma_f64 v[40:41], v[136:137], v[174:175], -v[116:117]
	v_fma_f64 v[74:75], v[134:135], v[178:179], -v[122:123]
	v_lshlrev_b32_sdwa v95, v84, v194 dst_sel:DWORD dst_unused:UNUSED_PAD src0_sel:DWORD src1_sel:BYTE_0
	v_add_f64 v[93:94], v[98:99], v[82:83]
	v_add_f64 v[106:107], v[128:129], v[144:145]
	v_add_f64 v[98:99], v[82:83], -v[98:99]
	v_lshlrev_b32_sdwa v82, v84, v193 dst_sel:DWORD dst_unused:UNUSED_PAD src0_sel:DWORD src1_sel:BYTE_0
	v_add_f64 v[112:113], v[78:79], v[85:86]
	v_add_f64 v[85:86], v[85:86], -v[78:79]
	v_fma_f64 v[78:79], v[24:25], v[182:183], v[146:147]
	v_add_f64 v[108:109], v[91:92], -v[100:101]
	v_add_f64 v[91:92], v[100:101], v[91:92]
	v_add_f64 v[100:101], v[144:145], -v[128:129]
	v_add_f64 v[110:111], v[96:97], v[87:88]
	;; [unrolled: 2-line block ×3, first 2 shown]
	v_add_f64 v[87:88], v[87:88], -v[96:97]
	v_mad_u32_u24 v24, 0x2d8, v148, 0
	v_mad_u32_u24 v25, 0x2d8, v149, 0
	v_add3_u32 v83, v24, v82, v161
	v_add3_u32 v82, v25, v95, v161
	ds_write2_b64 v83, v[114:115], v[93:94] offset1:13
	ds_write2_b64 v83, v[106:107], v[108:109] offset0:26 offset1:39
	ds_write2_b64 v83, v[91:92], v[100:101] offset0:52 offset1:65
	ds_write_b64 v83, v[98:99] offset:624
	ds_write2_b64 v82, v[104:105], v[110:111] offset1:13
	ds_write2_b64 v82, v[112:113], v[116:117] offset0:26 offset1:39
	ds_write2_b64 v82, v[89:90], v[85:86] offset0:52 offset1:65
	ds_write_b64 v82, v[87:88] offset:624
	s_and_saveexec_b32 s1, s0
	s_cbranch_execz .LBB0_23
; %bb.22:
	v_add_f64 v[24:25], v[48:49], v[74:75]
	v_add_f64 v[85:86], v[66:67], v[32:33]
	v_add_f64 v[87:88], v[36:37], -v[72:73]
	v_add_f64 v[89:90], v[70:71], -v[76:77]
	v_add_f64 v[91:92], v[44:45], v[40:41]
	v_add_f64 v[93:94], v[68:69], -v[78:79]
	v_lshlrev_b32_sdwa v84, v84, v81 dst_sel:DWORD dst_unused:UNUSED_PAD src0_sel:DWORD src1_sel:WORD_0
	v_add3_u32 v84, 0, v84, v161
	v_add_f64 v[95:96], v[24:25], v[85:86]
	v_add_f64 v[97:98], v[87:88], -v[89:90]
	v_add_f64 v[99:100], v[85:86], -v[91:92]
	;; [unrolled: 1-line block ×3, first 2 shown]
	v_add_f64 v[89:90], v[87:88], v[89:90]
	v_add_f64 v[87:88], v[93:94], -v[87:88]
	v_add_f64 v[95:96], v[91:92], v[95:96]
	v_add_f64 v[91:92], v[91:92], -v[24:25]
	v_add_f64 v[24:25], v[24:25], -v[85:86]
	v_mul_f64 v[85:86], v[97:98], s[22:23]
	v_mul_f64 v[97:98], v[99:100], s[20:21]
	;; [unrolled: 1-line block ×3, first 2 shown]
	v_add_f64 v[89:90], v[89:90], v[93:94]
	v_add_f64 v[103:104], v[130:131], v[95:96]
	v_mul_f64 v[105:106], v[91:92], s[4:5]
	v_fma_f64 v[93:94], v[87:88], s[24:25], v[85:86]
	v_fma_f64 v[91:92], v[91:92], s[4:5], v[97:98]
	v_fma_f64 v[107:108], v[24:25], s[18:19], -v[97:98]
	v_fma_f64 v[87:88], v[87:88], s[26:27], -v[99:100]
	;; [unrolled: 1-line block ×3, first 2 shown]
	v_fma_f64 v[95:96], v[95:96], s[10:11], v[103:104]
	v_fma_f64 v[24:25], v[24:25], s[14:15], -v[105:106]
	v_fma_f64 v[93:94], v[89:90], s[16:17], v[93:94]
	v_fma_f64 v[87:88], v[89:90], s[16:17], v[87:88]
	;; [unrolled: 1-line block ×3, first 2 shown]
	v_add_f64 v[91:92], v[91:92], v[95:96]
	v_add_f64 v[89:90], v[107:108], v[95:96]
	;; [unrolled: 1-line block ×4, first 2 shown]
	v_add_f64 v[95:96], v[89:90], -v[87:88]
	v_add_f64 v[97:98], v[24:25], -v[85:86]
	v_add_f64 v[87:88], v[87:88], v[89:90]
	v_add_f64 v[24:25], v[85:86], v[24:25]
	v_add_f64 v[85:86], v[91:92], -v[93:94]
	v_add_nc_u32_e32 v89, 0x2400, v84
	v_add_nc_u32_e32 v90, 0x2800, v84
	ds_write2_b64 v89, v[103:104], v[99:100] offset0:122 offset1:135
	ds_write2_b64 v90, v[87:88], v[97:98] offset0:20 offset1:33
	;; [unrolled: 1-line block ×3, first 2 shown]
	ds_write_b64 v84, v[85:86] offset:10816
.LBB0_23:
	s_or_b32 exec_lo, exec_lo, s1
	v_add_f64 v[24:25], v[60:61], v[64:65]
	v_add_f64 v[58:59], v[58:59], v[62:63]
	;; [unrolled: 1-line block ×5, first 2 shown]
	v_add_f64 v[18:19], v[42:43], -v[50:51]
	v_add_f64 v[2:3], v[6:7], -v[2:3]
	;; [unrolled: 1-line block ×4, first 2 shown]
	v_add_f64 v[8:9], v[12:13], v[8:9]
	v_add_f64 v[10:11], v[22:23], -v[10:11]
	v_add_f64 v[12:13], v[34:35], -v[46:47]
	s_waitcnt lgkmcnt(0)
	s_barrier
	buffer_gl0_inv
	v_add_f64 v[20:21], v[58:59], v[24:25]
	v_add_f64 v[22:23], v[16:17], v[4:5]
	v_add_f64 v[34:35], v[24:25], -v[14:15]
	v_add_f64 v[38:39], v[14:15], -v[58:59]
	;; [unrolled: 1-line block ×5, first 2 shown]
	v_add_f64 v[18:19], v[2:3], v[18:19]
	v_add_f64 v[50:51], v[10:11], -v[30:31]
	v_add_f64 v[52:53], v[30:31], -v[12:13]
	;; [unrolled: 1-line block ×3, first 2 shown]
	v_add_f64 v[30:31], v[10:11], v[30:31]
	v_add_f64 v[10:11], v[12:13], -v[10:11]
	v_add_f64 v[14:15], v[14:15], v[20:21]
	v_add_f64 v[20:21], v[4:5], -v[8:9]
	v_add_f64 v[22:23], v[8:9], v[22:23]
	v_add_f64 v[8:9], v[8:9], -v[16:17]
	v_mul_f64 v[34:35], v[34:35], s[20:21]
	v_mul_f64 v[42:43], v[42:43], s[22:23]
	;; [unrolled: 1-line block ×4, first 2 shown]
	v_add_f64 v[6:7], v[18:19], v[6:7]
	v_add_f64 v[12:13], v[30:31], v[12:13]
	;; [unrolled: 1-line block ×3, first 2 shown]
	v_mul_f64 v[20:21], v[20:21], s[20:21]
	v_mul_f64 v[26:27], v[50:51], s[22:23]
	;; [unrolled: 1-line block ×3, first 2 shown]
	v_add_f64 v[60:61], v[0:1], v[22:23]
	v_add_f64 v[0:1], v[16:17], -v[4:5]
	v_mul_f64 v[4:5], v[8:9], s[4:5]
	v_fma_f64 v[16:17], v[38:39], s[4:5], v[34:35]
	v_fma_f64 v[30:31], v[2:3], s[24:25], v[42:43]
	v_fma_f64 v[18:19], v[24:25], s[14:15], -v[54:55]
	v_fma_f64 v[38:39], v[46:47], s[6:7], -v[42:43]
	;; [unrolled: 1-line block ×4, first 2 shown]
	v_add_nc_u32_e32 v42, 0x1c00, v159
	v_add_nc_u32_e32 v43, 0x2000, v159
	v_fma_f64 v[14:15], v[14:15], s[10:11], v[58:59]
	v_fma_f64 v[8:9], v[8:9], s[4:5], v[20:21]
	;; [unrolled: 1-line block ×3, first 2 shown]
	v_fma_f64 v[26:27], v[52:53], s[6:7], -v[26:27]
	v_fma_f64 v[10:11], v[10:11], s[26:27], -v[50:51]
	v_fma_f64 v[22:23], v[22:23], s[10:11], v[60:61]
	v_fma_f64 v[20:21], v[0:1], s[18:19], -v[20:21]
	v_fma_f64 v[0:1], v[0:1], s[14:15], -v[4:5]
	v_fma_f64 v[46:47], v[6:7], s[16:17], v[30:31]
	ds_read_b64 v[30:31], v158
	v_fma_f64 v[50:51], v[6:7], s[16:17], v[38:39]
	v_fma_f64 v[52:53], v[6:7], s[16:17], v[2:3]
	v_add_nc_u32_e32 v38, 0xc00, v159
	v_add_nc_u32_e32 v39, 0x1800, v159
	v_add_f64 v[16:17], v[16:17], v[14:15]
	v_add_f64 v[54:55], v[24:25], v[14:15]
	;; [unrolled: 1-line block ×3, first 2 shown]
	v_fma_f64 v[18:19], v[12:13], s[16:17], v[34:35]
	v_fma_f64 v[56:57], v[12:13], s[16:17], v[26:27]
	;; [unrolled: 1-line block ×3, first 2 shown]
	v_add_f64 v[8:9], v[8:9], v[22:23]
	v_add_f64 v[12:13], v[20:21], v[22:23]
	;; [unrolled: 1-line block ×3, first 2 shown]
	v_add_nc_u32_e32 v34, 0x800, v159
	v_add_nc_u32_e32 v35, 0x1000, v159
	ds_read2_b64 v[0:3], v159 offset0:91 offset1:182
	ds_read2_b64 v[24:27], v34 offset0:17 offset1:108
	;; [unrolled: 1-line block ×4, first 2 shown]
	v_add_f64 v[64:65], v[16:17], -v[46:47]
	v_add_f64 v[84:85], v[54:55], -v[52:53]
	v_add_f64 v[86:87], v[50:51], v[14:15]
	v_add_f64 v[50:51], v[14:15], -v[50:51]
	v_add_f64 v[52:53], v[52:53], v[54:55]
	v_add_f64 v[46:47], v[46:47], v[16:17]
	v_add_f64 v[54:55], v[8:9], -v[18:19]
	v_add_f64 v[88:89], v[12:13], -v[10:11]
	v_add_f64 v[90:91], v[56:57], v[62:63]
	v_add_f64 v[56:57], v[62:63], -v[56:57]
	v_add_f64 v[62:63], v[10:11], v[12:13]
	v_add_f64 v[92:93], v[18:19], v[8:9]
	ds_read2_b64 v[8:11], v42 offset0:105 offset1:196
	ds_read2_b64 v[16:19], v35 offset0:125 offset1:216
	;; [unrolled: 1-line block ×3, first 2 shown]
	s_waitcnt lgkmcnt(0)
	s_barrier
	buffer_gl0_inv
	ds_write2_b64 v83, v[58:59], v[64:65] offset1:13
	ds_write2_b64 v83, v[84:85], v[86:87] offset0:26 offset1:39
	ds_write2_b64 v83, v[50:51], v[52:53] offset0:52 offset1:65
	ds_write_b64 v83, v[46:47] offset:624
	ds_write2_b64 v82, v[60:61], v[54:55] offset1:13
	ds_write2_b64 v82, v[88:89], v[90:91] offset0:26 offset1:39
	ds_write2_b64 v82, v[56:57], v[62:63] offset0:52 offset1:65
	ds_write_b64 v82, v[92:93] offset:624
	s_and_saveexec_b32 s1, s0
	s_cbranch_execz .LBB0_25
; %bb.24:
	v_add_f64 v[46:47], v[68:69], v[78:79]
	v_add_f64 v[50:51], v[70:71], v[76:77]
	;; [unrolled: 1-line block ×3, first 2 shown]
	v_add_f64 v[48:49], v[48:49], -v[74:75]
	v_add_f64 v[40:41], v[40:41], -v[44:45]
	;; [unrolled: 1-line block ×3, first 2 shown]
	s_mov_b32 s4, 0x37e14327
	s_mov_b32 s5, 0x3fe948f6
	;; [unrolled: 1-line block ×10, first 2 shown]
	v_add_f64 v[44:45], v[50:51], v[46:47]
	v_add_f64 v[52:53], v[46:47], -v[36:37]
	v_add_f64 v[54:55], v[36:37], -v[50:51]
	;; [unrolled: 1-line block ×4, first 2 shown]
	v_add_f64 v[36:37], v[36:37], v[44:45]
	v_add_f64 v[44:45], v[50:51], -v[46:47]
	v_add_f64 v[46:47], v[40:41], v[48:49]
	v_mul_f64 v[48:49], v[52:53], s[4:5]
	s_mov_b32 s4, 0x429ad128
	v_add_f64 v[40:41], v[32:33], -v[40:41]
	v_mul_f64 v[52:53], v[56:57], s[10:11]
	s_mov_b32 s5, 0x3febfeb5
	v_mul_f64 v[50:51], v[54:55], s[6:7]
	v_mul_f64 v[56:57], v[58:59], s[4:5]
	s_mov_b32 s10, 0xaaaaaaaa
	s_mov_b32 s11, 0xbff2aaaa
	v_add_f64 v[28:29], v[28:29], v[36:37]
	v_add_f64 v[32:33], v[46:47], v[32:33]
	v_fma_f64 v[46:47], v[54:55], s[6:7], v[48:49]
	v_fma_f64 v[54:55], v[40:41], s[16:17], v[52:53]
	s_mov_b32 s17, 0xbfd5d0dc
	v_fma_f64 v[50:51], v[44:45], s[14:15], -v[50:51]
	s_mov_b32 s15, 0xbfe77f67
	v_fma_f64 v[52:53], v[58:59], s[4:5], -v[52:53]
	v_fma_f64 v[40:41], v[40:41], s[16:17], -v[56:57]
	v_fma_f64 v[44:45], v[44:45], s[14:15], -v[48:49]
	s_mov_b32 s4, 0x37c3f68c
	s_mov_b32 s5, 0x3fdc38aa
	v_mov_b32_e32 v56, 3
	v_fma_f64 v[36:37], v[36:37], s[10:11], v[28:29]
	v_fma_f64 v[48:49], v[32:33], s[4:5], v[54:55]
	;; [unrolled: 1-line block ×4, first 2 shown]
	v_add_f64 v[40:41], v[46:47], v[36:37]
	v_add_f64 v[44:45], v[44:45], v[36:37]
	;; [unrolled: 1-line block ×3, first 2 shown]
	v_add_f64 v[46:47], v[40:41], -v[48:49]
	v_add_f64 v[50:51], v[44:45], -v[32:33]
	v_add_f64 v[54:55], v[52:53], v[36:37]
	v_add_f64 v[36:37], v[36:37], -v[52:53]
	v_add_f64 v[32:33], v[32:33], v[44:45]
	v_add_f64 v[40:41], v[48:49], v[40:41]
	v_lshlrev_b32_sdwa v44, v56, v81 dst_sel:DWORD dst_unused:UNUSED_PAD src0_sel:DWORD src1_sel:WORD_0
	v_add3_u32 v44, 0, v44, v161
	v_add_nc_u32_e32 v45, 0x2400, v44
	v_add_nc_u32_e32 v48, 0x2800, v44
	ds_write2_b64 v45, v[28:29], v[46:47] offset0:122 offset1:135
	ds_write2_b64 v48, v[50:51], v[54:55] offset0:20 offset1:33
	;; [unrolled: 1-line block ×3, first 2 shown]
	ds_write_b64 v44, v[40:41] offset:10816
.LBB0_25:
	s_or_b32 exec_lo, exec_lo, s1
	v_mov_b32_e32 v32, 0x6817
	v_lshlrev_b32_e32 v52, 2, v190
	v_mov_b32_e32 v53, 0
	s_waitcnt lgkmcnt(0)
	s_barrier
	v_mul_u32_u24_sdwa v32, v80, v32 dst_sel:DWORD dst_unused:UNUSED_PAD src0_sel:WORD_0 src1_sel:DWORD
	buffer_gl0_inv
	v_lshlrev_b64 v[28:29], 4, v[52:53]
	s_mov_b32 s6, 0x134454ff
	s_mov_b32 s7, 0x3fee6f0e
	v_lshrrev_b32_e32 v32, 16, v32
	s_mov_b32 s4, 0x4755a5e
	s_mov_b32 s5, 0x3fe2cf23
	v_add_co_u32 v28, s0, s8, v28
	v_add_co_ci_u32_e64 v29, s0, s9, v29, s0
	v_sub_nc_u16 v33, v80, v32
	s_clause 0x3
	global_load_dwordx4 v[44:47], v[28:29], off offset:1248
	global_load_dwordx4 v[48:51], v[28:29], off offset:1264
	;; [unrolled: 1-line block ×4, first 2 shown]
	v_lshrrev_b16 v28, 1, v33
	v_mov_b32_e32 v29, 6
	v_mov_b32_e32 v33, 3
	s_mov_b32 s11, 0xbfee6f0e
	s_mov_b32 s10, s6
	v_add_nc_u16 v28, v28, v32
	s_mov_b32 s15, 0xbfe2cf23
	s_mov_b32 s14, s4
	;; [unrolled: 1-line block ×4, first 2 shown]
	v_lshrrev_b16 v28, 6, v28
	v_add_nc_u32_e32 v52, 0x400, v159
	v_add_nc_u32_e32 v157, 0x1400, v159
	v_mul_lo_u16 v28, 0x5b, v28
	v_sub_nc_u16 v32, v80, v28
	v_lshlrev_b32_sdwa v28, v29, v32 dst_sel:DWORD dst_unused:UNUSED_PAD src0_sel:DWORD src1_sel:WORD_0
	v_lshlrev_b32_sdwa v115, v33, v32 dst_sel:DWORD dst_unused:UNUSED_PAD src0_sel:DWORD src1_sel:WORD_0
	s_clause 0x3
	global_load_dwordx4 v[62:65], v28, s[8:9] offset:1248
	global_load_dwordx4 v[66:69], v28, s[8:9] offset:1264
	;; [unrolled: 1-line block ×4, first 2 shown]
	ds_read_b64 v[28:29], v158
	ds_read2_b64 v[81:84], v34 offset0:17 offset1:108
	ds_read2_b64 v[85:88], v38 offset0:71 offset1:162
	;; [unrolled: 1-line block ×7, first 2 shown]
	v_add3_u32 v161, 0, v115, v161
	s_waitcnt vmcnt(0) lgkmcnt(0)
	s_barrier
	buffer_gl0_inv
	v_add_nc_u32_e32 v162, 0x1800, v161
	v_add_nc_u32_e32 v163, 0x2000, v161
	v_mul_f64 v[32:33], v[81:82], v[46:47]
	v_mul_f64 v[36:37], v[24:25], v[46:47]
	;; [unrolled: 1-line block ×16, first 2 shown]
	v_fma_f64 v[24:25], v[24:25], v[44:45], -v[32:33]
	v_fma_f64 v[32:33], v[81:82], v[44:45], v[36:37]
	v_fma_f64 v[6:7], v[6:7], v[48:49], -v[40:41]
	v_fma_f64 v[36:37], v[87:88], v[48:49], v[78:79]
	;; [unrolled: 2-line block ×3, first 2 shown]
	v_fma_f64 v[78:79], v[89:90], v[54:55], v[113:114]
	v_fma_f64 v[10:11], v[10:11], v[58:59], -v[115:116]
	v_fma_f64 v[26:27], v[26:27], v[44:45], -v[117:118]
	v_fma_f64 v[44:45], v[83:84], v[44:45], v[46:47]
	v_fma_f64 v[16:17], v[16:17], v[48:49], -v[119:120]
	v_fma_f64 v[46:47], v[101:102], v[48:49], v[50:51]
	;; [unrolled: 2-line block ×4, first 2 shown]
	v_mul_f64 v[54:55], v[85:86], v[64:65]
	v_mul_f64 v[56:57], v[4:5], v[64:65]
	;; [unrolled: 1-line block ×8, first 2 shown]
	v_add_f64 v[81:82], v[30:31], v[24:25]
	v_add_f64 v[105:106], v[6:7], -v[24:25]
	v_add_f64 v[83:84], v[6:7], v[20:21]
	v_add_f64 v[87:88], v[32:33], -v[40:41]
	v_add_f64 v[91:92], v[24:25], -v[6:7]
	;; [unrolled: 1-line block ×4, first 2 shown]
	v_add_f64 v[101:102], v[24:25], v[10:11]
	v_add_f64 v[111:112], v[28:29], v[32:33]
	;; [unrolled: 1-line block ×3, first 2 shown]
	v_add_f64 v[115:116], v[6:7], -v[20:21]
	v_add_f64 v[117:118], v[32:33], -v[36:37]
	v_add_f64 v[121:122], v[32:33], v[40:41]
	v_add_f64 v[32:33], v[36:37], -v[32:33]
	v_fma_f64 v[4:5], v[4:5], v[62:63], -v[54:55]
	v_add_f64 v[123:124], v[78:79], -v[40:41]
	v_fma_f64 v[18:19], v[18:19], v[66:67], -v[58:59]
	v_fma_f64 v[8:9], v[8:9], v[70:71], -v[64:65]
	v_add_f64 v[125:126], v[0:1], v[26:27]
	v_add_f64 v[127:128], v[16:17], v[22:23]
	v_fma_f64 v[14:15], v[14:15], v[74:75], -v[72:73]
	v_fma_f64 v[54:55], v[85:86], v[62:63], v[56:57]
	v_fma_f64 v[56:57], v[103:104], v[66:67], v[60:61]
	;; [unrolled: 1-line block ×4, first 2 shown]
	v_add_f64 v[6:7], v[81:82], v[6:7]
	v_fma_f64 v[62:63], v[83:84], -0.5, v[30:31]
	v_add_f64 v[145:146], v[46:47], v[48:49]
	v_add_f64 v[153:154], v[44:45], v[50:51]
	v_add_f64 v[66:67], v[105:106], v[109:110]
	v_add_f64 v[137:138], v[26:27], v[12:13]
	v_add_f64 v[89:90], v[36:37], -v[78:79]
	v_add_f64 v[119:120], v[40:41], -v[78:79]
	v_add_f64 v[129:130], v[44:45], -v[50:51]
	v_add_f64 v[133:134], v[26:27], -v[16:17]
	v_add_f64 v[139:140], v[16:17], -v[26:27]
	v_add_f64 v[147:148], v[16:17], -v[22:23]
	v_add_f64 v[64:65], v[91:92], v[95:96]
	v_fma_f64 v[30:31], v[101:102], -0.5, v[30:31]
	v_add_f64 v[93:94], v[18:19], v[8:9]
	v_fma_f64 v[68:69], v[113:114], -0.5, v[28:29]
	v_add_f64 v[32:33], v[32:33], v[123:124]
	v_add_f64 v[105:106], v[4:5], v[14:15]
	v_add_f64 v[16:17], v[125:126], v[16:17]
	v_fma_f64 v[72:73], v[127:128], -0.5, v[0:1]
	v_add_f64 v[91:92], v[2:3], v[4:5]
	v_add_f64 v[95:96], v[54:55], -v[60:61]
	v_add_f64 v[101:102], v[4:5], -v[18:19]
	;; [unrolled: 1-line block ×3, first 2 shown]
	v_add_f64 v[113:114], v[56:57], v[58:59]
	v_add_f64 v[123:124], v[54:55], v[60:61]
	;; [unrolled: 1-line block ×3, first 2 shown]
	v_fma_f64 v[20:21], v[87:88], s[6:7], v[62:63]
	v_add_f64 v[143:144], v[97:98], v[44:45]
	v_fma_f64 v[81:82], v[145:146], -0.5, v[97:98]
	v_fma_f64 v[85:86], v[153:154], -0.5, v[97:98]
	v_add_f64 v[97:98], v[56:57], -v[58:59]
	v_add_f64 v[107:108], v[18:19], -v[4:5]
	;; [unrolled: 1-line block ×5, first 2 shown]
	v_fma_f64 v[93:94], v[93:94], -0.5, v[2:3]
	v_add_f64 v[135:136], v[12:13], -v[22:23]
	v_add_f64 v[36:37], v[111:112], v[36:37]
	v_fma_f64 v[2:3], v[105:106], -0.5, v[2:3]
	v_fma_f64 v[28:29], v[121:122], -0.5, v[28:29]
	;; [unrolled: 1-line block ×3, first 2 shown]
	v_add_f64 v[141:142], v[22:23], -v[12:13]
	v_add_f64 v[70:71], v[117:118], v[119:120]
	v_add_f64 v[111:112], v[99:100], v[54:55]
	v_add_f64 v[4:5], v[4:5], -v[14:15]
	v_add_f64 v[117:118], v[18:19], -v[8:9]
	v_fma_f64 v[62:63], v[87:88], s[10:11], v[62:63]
	v_fma_f64 v[127:128], v[89:90], s[10:11], v[30:31]
	;; [unrolled: 1-line block ×3, first 2 shown]
	v_add_f64 v[16:17], v[16:17], v[22:23]
	v_fma_f64 v[22:23], v[129:130], s[6:7], v[72:73]
	v_fma_f64 v[72:73], v[129:130], s[10:11], v[72:73]
	v_add_f64 v[18:19], v[91:92], v[18:19]
	v_add_f64 v[91:92], v[101:102], v[103:104]
	v_fma_f64 v[103:104], v[113:114], -0.5, v[99:100]
	v_fma_f64 v[99:100], v[123:124], -0.5, v[99:100]
	v_add_f64 v[6:7], v[6:7], v[10:11]
	v_fma_f64 v[10:11], v[89:90], s[4:5], v[20:21]
	v_fma_f64 v[20:21], v[95:96], s[6:7], v[93:94]
	v_add_f64 v[101:102], v[107:108], v[109:110]
	v_fma_f64 v[109:110], v[97:98], s[10:11], v[2:3]
	v_fma_f64 v[2:3], v[97:98], s[6:7], v[2:3]
	;; [unrolled: 1-line block ×3, first 2 shown]
	v_add_f64 v[74:75], v[133:134], v[135:136]
	v_add_f64 v[36:37], v[36:37], v[78:79]
	v_fma_f64 v[78:79], v[24:25], s[10:11], v[68:69]
	v_fma_f64 v[133:134], v[115:116], s[6:7], v[28:29]
	;; [unrolled: 1-line block ×5, first 2 shown]
	v_add_f64 v[26:27], v[26:27], -v[12:13]
	v_add_f64 v[149:150], v[44:45], -v[46:47]
	v_add_f64 v[44:45], v[46:47], -v[44:45]
	v_add_f64 v[46:47], v[143:144], v[46:47]
	v_add_f64 v[155:156], v[48:49], -v[50:51]
	v_add_f64 v[119:120], v[54:55], -v[56:57]
	;; [unrolled: 1-line block ×5, first 2 shown]
	v_fma_f64 v[68:69], v[24:25], s[6:7], v[68:69]
	v_fma_f64 v[135:136], v[147:148], s[6:7], v[85:86]
	;; [unrolled: 1-line block ×3, first 2 shown]
	v_add_f64 v[56:57], v[111:112], v[56:57]
	v_fma_f64 v[62:63], v[89:90], s[14:15], v[62:63]
	v_fma_f64 v[89:90], v[87:88], s[4:5], v[127:128]
	;; [unrolled: 1-line block ×3, first 2 shown]
	v_add_f64 v[12:13], v[16:17], v[12:13]
	v_fma_f64 v[16:17], v[131:132], s[4:5], v[22:23]
	v_fma_f64 v[22:23], v[131:132], s[14:15], v[72:73]
	v_add_f64 v[8:9], v[18:19], v[8:9]
	v_fma_f64 v[18:19], v[4:5], s[10:11], v[103:104]
	v_fma_f64 v[72:73], v[4:5], s[6:7], v[103:104]
	;; [unrolled: 1-line block ×8, first 2 shown]
	v_add_f64 v[76:77], v[139:140], v[141:142]
	v_add_f64 v[36:37], v[36:37], v[40:41]
	v_fma_f64 v[40:41], v[115:116], s[14:15], v[78:79]
	v_fma_f64 v[78:79], v[24:25], s[14:15], v[133:134]
	;; [unrolled: 1-line block ×5, first 2 shown]
	v_add_f64 v[151:152], v[50:51], -v[48:49]
	v_add_f64 v[46:47], v[46:47], v[48:49]
	v_fma_f64 v[48:49], v[26:27], s[10:11], v[81:82]
	v_fma_f64 v[81:82], v[26:27], s[6:7], v[81:82]
	v_add_f64 v[44:45], v[44:45], v[155:156]
	v_add_f64 v[107:108], v[119:120], v[121:122]
	;; [unrolled: 1-line block ×3, first 2 shown]
	v_fma_f64 v[68:69], v[115:116], s[4:5], v[68:69]
	v_fma_f64 v[95:96], v[26:27], s[14:15], v[135:136]
	;; [unrolled: 1-line block ×3, first 2 shown]
	v_add_f64 v[56:57], v[56:57], v[58:59]
	v_fma_f64 v[10:11], v[64:65], s[0:1], v[10:11]
	v_fma_f64 v[58:59], v[64:65], s[0:1], v[62:63]
	v_add_f64 v[8:9], v[8:9], v[14:15]
	v_fma_f64 v[14:15], v[117:118], s[14:15], v[18:19]
	v_fma_f64 v[18:19], v[117:118], s[4:5], v[72:73]
	;; [unrolled: 1-line block ×14, first 2 shown]
	v_add_f64 v[83:84], v[149:150], v[151:152]
	v_fma_f64 v[48:49], v[147:148], s[14:15], v[48:49]
	v_fma_f64 v[81:82], v[147:148], s[4:5], v[81:82]
	v_add_f64 v[46:47], v[46:47], v[50:51]
	v_fma_f64 v[50:51], v[70:71], s[0:1], v[68:69]
	v_fma_f64 v[68:69], v[32:33], s[0:1], v[78:79]
	;; [unrolled: 1-line block ×5, first 2 shown]
	v_add_f64 v[56:57], v[56:57], v[60:61]
	ds_write2_b64 v159, v[6:7], v[10:11] offset1:91
	ds_write2_b64 v52, v[62:63], v[30:31] offset0:54 offset1:145
	ds_write2_b64 v34, v[58:59], v[12:13] offset0:108 offset1:199
	;; [unrolled: 1-line block ×4, first 2 shown]
	v_fma_f64 v[28:29], v[107:108], s[0:1], v[14:15]
	v_fma_f64 v[30:31], v[107:108], s[0:1], v[18:19]
	;; [unrolled: 1-line block ×4, first 2 shown]
	ds_write2_b64 v162, v[8:9], v[20:21] offset0:142 offset1:233
	ds_write2_b64 v163, v[66:67], v[2:3] offset0:68 offset1:159
	ds_write_b64 v161, v[72:73] offset:10192
	s_waitcnt lgkmcnt(0)
	s_barrier
	buffer_gl0_inv
	ds_read_b64 v[54:55], v158
	ds_read2_b64 v[8:11], v38 offset0:71 offset1:162
	ds_read2_b64 v[16:19], v39 offset0:51 offset1:142
	;; [unrolled: 1-line block ×7, first 2 shown]
	v_fma_f64 v[40:41], v[70:71], s[0:1], v[40:41]
	v_fma_f64 v[48:49], v[83:84], s[0:1], v[48:49]
	;; [unrolled: 1-line block ×3, first 2 shown]
	s_waitcnt lgkmcnt(0)
	s_barrier
	buffer_gl0_inv
	ds_write2_b64 v159, v[36:37], v[40:41] offset1:91
	ds_write2_b64 v52, v[68:69], v[32:33] offset0:54 offset1:145
	ds_write2_b64 v34, v[50:51], v[46:47] offset0:108 offset1:199
	ds_write2_b64 v35, v[48:49], v[74:75] offset0:34 offset1:125
	ds_write2_b64 v157, v[44:45], v[70:71] offset0:88 offset1:179
	ds_write2_b64 v162, v[56:57], v[28:29] offset0:142 offset1:233
	ds_write2_b64 v163, v[58:59], v[60:61] offset0:68 offset1:159
	ds_write_b64 v161, v[30:31] offset:10192
	s_waitcnt lgkmcnt(0)
	s_barrier
	buffer_gl0_inv
	s_and_saveexec_b32 s0, vcc_lo
	s_cbranch_execz .LBB0_27
; %bb.26:
	v_add_nc_u32_e32 v56, 0x16c, v190
	v_add_nc_u32_e32 v57, 0x111, v190
	;; [unrolled: 1-line block ×5, first 2 shown]
	v_lshlrev_b32_e32 v52, 1, v56
	v_mul_hi_u32 v122, 0x20120121, v80
	v_add_nc_u32_e32 v121, 0x3e9, v190
	v_mad_u64_u32 v[78:79], null, s2, v190, 0
	v_lshlrev_b64 v[28:29], 4, v[52:53]
	v_lshlrev_b32_e32 v52, 1, v57
	v_mad_u64_u32 v[107:108], null, s2, v118, 0
	v_mad_u64_u32 v[109:110], null, s2, v119, 0
	v_add_co_u32 v28, vcc_lo, s8, v28
	v_add_co_ci_u32_e32 v29, vcc_lo, s9, v29, vcc_lo
	v_lshlrev_b64 v[30:31], 4, v[52:53]
	v_add_co_u32 v32, vcc_lo, 0x1ba0, v28
	v_add_co_ci_u32_e32 v33, vcc_lo, 0, v29, vcc_lo
	v_lshlrev_b32_e32 v52, 1, v80
	v_add_co_u32 v28, vcc_lo, 0x1800, v28
	v_add_co_ci_u32_e32 v29, vcc_lo, 0, v29, vcc_lo
	v_add_co_u32 v40, vcc_lo, s8, v30
	v_lshlrev_b64 v[36:37], 4, v[52:53]
	v_add_co_ci_u32_e32 v41, vcc_lo, s9, v31, vcc_lo
	v_add_co_u32 v38, vcc_lo, 0x1ba0, v40
	v_lshlrev_b32_e32 v52, 1, v160
	v_add_co_ci_u32_e32 v39, vcc_lo, 0, v41, vcc_lo
	v_add_co_u32 v42, vcc_lo, s8, v36
	v_add_co_ci_u32_e32 v43, vcc_lo, s9, v37, vcc_lo
	v_add_co_u32 v36, vcc_lo, 0x1800, v40
	v_add_co_ci_u32_e32 v37, vcc_lo, 0, v41, vcc_lo
	v_add_co_u32 v40, vcc_lo, 0x1800, v42
	v_lshlrev_b64 v[60:61], 4, v[52:53]
	v_add_co_ci_u32_e32 v41, vcc_lo, 0, v43, vcc_lo
	v_add_co_u32 v58, vcc_lo, 0x1ba0, v42
	v_lshlrev_b32_e32 v52, 1, v190
	v_add_co_ci_u32_e32 v59, vcc_lo, 0, v43, vcc_lo
	s_clause 0x5
	global_load_dwordx4 v[28:31], v[28:29], off offset:928
	global_load_dwordx4 v[32:35], v[32:33], off offset:16
	;; [unrolled: 1-line block ×6, first 2 shown]
	v_add_co_u32 v58, vcc_lo, s8, v60
	v_add_co_ci_u32_e32 v59, vcc_lo, s9, v61, vcc_lo
	v_lshlrev_b64 v[52:53], 4, v[52:53]
	v_add_co_u32 v62, vcc_lo, 0x1ba0, v58
	v_add_co_ci_u32_e32 v63, vcc_lo, 0, v59, vcc_lo
	v_mad_u64_u32 v[105:106], null, s2, v160, 0
	v_add_co_u32 v60, vcc_lo, s8, v52
	v_add_co_ci_u32_e32 v61, vcc_lo, s9, v53, vcc_lo
	v_add_co_u32 v52, vcc_lo, 0x1800, v58
	v_add_co_ci_u32_e32 v53, vcc_lo, 0, v59, vcc_lo
	;; [unrolled: 2-line block ×4, first 2 shown]
	s_clause 0x3
	global_load_dwordx4 v[58:61], v[52:53], off offset:928
	global_load_dwordx4 v[62:65], v[62:63], off offset:16
	;; [unrolled: 1-line block ×4, first 2 shown]
	ds_read2_b64 v[74:77], v159 offset0:91 offset1:182
	ds_read_b64 v[52:53], v158
	s_clause 0x1
	buffer_load_dword v82, off, s[48:51], 0
	buffer_load_dword v83, off, s[48:51], 0 offset:4
	v_mad_u64_u32 v[111:112], null, s2, v120, 0
	v_mad_u64_u32 v[113:114], null, s2, v121, 0
	v_mul_hi_u32 v123, 0x20120121, v57
	v_sub_nc_u32_e32 v125, v80, v122
	v_mul_hi_u32 v124, 0x20120121, v56
	v_mad_u64_u32 v[115:116], null, s3, v190, v[79:80]
	v_mov_b32_e32 v79, v108
	v_mov_b32_e32 v108, v110
	v_mad_u64_u32 v[116:117], null, s3, v160, v[106:107]
	v_mov_b32_e32 v106, v112
	v_lshrrev_b32_e32 v112, 1, v125
	v_mov_b32_e32 v110, v114
	v_sub_nc_u32_e32 v114, v57, v123
	v_mad_u64_u32 v[117:118], null, s3, v118, v[79:80]
	v_mad_u64_u32 v[118:119], null, s3, v119, v[108:109]
	v_sub_nc_u32_e32 v125, v56, v124
	v_mad_u64_u32 v[119:120], null, s3, v120, v[106:107]
	v_add_nc_u32_e32 v108, v112, v122
	v_mad_u64_u32 v[120:121], null, s3, v121, v[110:111]
	v_lshrrev_b32_e32 v110, 1, v114
	v_lshrrev_b32_e32 v112, 1, v125
	v_mov_b32_e32 v79, v115
	v_lshrrev_b32_e32 v115, 8, v108
	v_mov_b32_e32 v106, v116
	v_add_nc_u32_e32 v116, v110, v123
	v_add_nc_u32_e32 v81, 0x1800, v159
	;; [unrolled: 1-line block ×5, first 2 shown]
	v_mad_u32_u24 v131, 0x38e, v115, v80
	v_add_nc_u32_e32 v93, 0x1000, v159
	v_lshrrev_b32_e32 v80, 8, v116
	v_add_nc_u32_e32 v97, 0x1c00, v159
	v_add_nc_u32_e32 v101, 0xc00, v159
	v_mov_b32_e32 v108, v117
	v_lshrrev_b32_e32 v117, 8, v121
	v_mad_u64_u32 v[115:116], null, s2, v131, 0
	v_mad_u32_u24 v135, 0x38e, v80, v57
	v_add_nc_u32_e32 v134, 0x38e, v131
	v_add_nc_u32_e32 v133, 0x1c7, v131
	v_mad_u32_u24 v136, 0x38e, v117, v56
	v_mov_b32_e32 v110, v118
	v_add_nc_u32_e32 v137, 0x1c7, v135
	v_mad_u64_u32 v[117:118], null, s2, v134, 0
	v_lshlrev_b64 v[78:79], 4, v[78:79]
	v_mov_b32_e32 v112, v119
	v_mov_b32_e32 v114, v120
	v_mad_u64_u32 v[56:57], null, s2, v133, 0
	v_mad_u64_u32 v[119:120], null, s2, v135, 0
	v_mov_b32_e32 v80, v116
	v_add_nc_u32_e32 v138, 0x38e, v135
	v_mad_u64_u32 v[121:122], null, s2, v136, 0
	v_add_nc_u32_e32 v139, 0x1c7, v136
	v_lshlrev_b64 v[105:106], 4, v[105:106]
	v_add_nc_u32_e32 v140, 0x38e, v136
	v_mad_u64_u32 v[123:124], null, s2, v137, 0
	v_lshlrev_b64 v[107:108], 4, v[107:108]
	v_mad_u64_u32 v[125:126], null, s2, v138, 0
	v_mad_u64_u32 v[127:128], null, s2, v139, 0
	;; [unrolled: 1-line block ×3, first 2 shown]
	v_mov_b32_e32 v116, v120
	v_lshlrev_b64 v[109:110], 4, v[109:110]
	v_lshlrev_b64 v[111:112], 4, v[111:112]
	;; [unrolled: 1-line block ×3, first 2 shown]
	s_mov_b32 s0, 0xe8584caa
	s_mov_b32 s1, 0x3febb67a
	v_mov_b32_e32 v120, v130
	s_mov_b32 s5, 0xbfebb67a
	s_mov_b32 s4, s0
	s_waitcnt vmcnt(5)
	v_mul_f64 v[143:144], v[10:11], v[60:61]
	s_waitcnt vmcnt(4)
	v_mul_f64 v[145:146], v[12:13], v[64:65]
	;; [unrolled: 2-line block ×4, first 2 shown]
	s_waitcnt vmcnt(1)
	v_add_co_u32 v151, vcc_lo, s12, v82
	s_waitcnt vmcnt(0)
	v_add_co_ci_u32_e32 v152, vcc_lo, s13, v83, vcc_lo
	ds_read2_b64 v[81:84], v81 offset0:51 offset1:142
	ds_read2_b64 v[85:88], v85 offset0:159 offset1:250
	;; [unrolled: 1-line block ×6, first 2 shown]
	v_add_co_u32 v78, vcc_lo, v151, v78
	v_add_co_ci_u32_e32 v79, vcc_lo, v152, v79, vcc_lo
	v_add_co_u32 v105, vcc_lo, v151, v105
	v_add_co_ci_u32_e32 v106, vcc_lo, v152, v106, vcc_lo
	;; [unrolled: 2-line block ×3, first 2 shown]
	v_add_co_u32 v109, vcc_lo, v151, v109
	s_waitcnt lgkmcnt(5)
	v_mad_u64_u32 v[131:132], null, s3, v131, v[80:81]
	v_mov_b32_e32 v80, v118
	v_mad_u64_u32 v[132:133], null, s3, v133, v[57:58]
	v_mov_b32_e32 v118, v122
	v_mov_b32_e32 v57, v124
	v_mad_u64_u32 v[133:134], null, s3, v134, v[80:81]
	v_mad_u64_u32 v[134:135], null, s3, v135, v[116:117]
	v_mov_b32_e32 v116, v131
	v_mov_b32_e32 v80, v126
	v_mad_u64_u32 v[135:136], null, s3, v136, v[118:119]
	v_mov_b32_e32 v118, v128
	v_mad_u64_u32 v[130:131], null, s3, v137, v[57:58]
	v_mov_b32_e32 v57, v132
	v_add_co_ci_u32_e32 v110, vcc_lo, v152, v110, vcc_lo
	v_add_co_u32 v111, vcc_lo, v151, v111
	v_lshlrev_b64 v[115:116], 4, v[115:116]
	v_mad_u64_u32 v[136:137], null, s3, v138, v[80:81]
	v_add_co_ci_u32_e32 v112, vcc_lo, v152, v112, vcc_lo
	v_mad_u64_u32 v[137:138], null, s3, v139, v[118:119]
	v_add_co_u32 v113, vcc_lo, v151, v113
	v_mad_u64_u32 v[138:139], null, s3, v140, v[120:121]
	v_lshlrev_b64 v[56:57], 4, v[56:57]
	v_add_co_ci_u32_e32 v114, vcc_lo, v152, v114, vcc_lo
	v_add_co_u32 v115, vcc_lo, v151, v115
	v_add_co_ci_u32_e32 v116, vcc_lo, v152, v116, vcc_lo
	v_add_co_u32 v131, vcc_lo, v151, v56
	v_mov_b32_e32 v118, v133
	v_mov_b32_e32 v120, v134
	v_mov_b32_e32 v124, v130
	v_mov_b32_e32 v128, v137
	v_mov_b32_e32 v130, v138
	v_add_co_ci_u32_e32 v132, vcc_lo, v152, v57, vcc_lo
	v_mul_f64 v[56:57], v[81:82], v[30:31]
	s_waitcnt lgkmcnt(4)
	v_mul_f64 v[133:134], v[87:88], v[34:35]
	v_mul_f64 v[30:31], v[16:17], v[30:31]
	;; [unrolled: 1-line block ×5, first 2 shown]
	s_waitcnt lgkmcnt(0)
	v_mul_f64 v[68:69], v[101:102], v[68:69]
	v_mul_f64 v[72:73], v[83:84], v[72:73]
	v_mov_b32_e32 v122, v135
	v_mov_b32_e32 v126, v136
	v_mul_f64 v[135:136], v[95:96], v[46:47]
	v_mul_f64 v[46:47], v[22:23], v[46:47]
	;; [unrolled: 1-line block ×8, first 2 shown]
	v_lshlrev_b64 v[117:118], 4, v[117:118]
	v_lshlrev_b64 v[119:120], 4, v[119:120]
	;; [unrolled: 1-line block ×4, first 2 shown]
	v_fma_f64 v[16:17], v[16:17], v[28:29], -v[56:57]
	v_fma_f64 v[26:27], v[26:27], v[32:33], -v[133:134]
	v_fma_f64 v[28:29], v[28:29], v[81:82], v[30:31]
	v_fma_f64 v[30:31], v[32:33], v[87:88], v[34:35]
	v_fma_f64 v[24:25], v[24:25], v[48:49], -v[137:138]
	v_fma_f64 v[34:35], v[48:49], v[85:86], v[50:51]
	v_fma_f64 v[48:49], v[66:67], v[101:102], v[147:148]
	;; [unrolled: 1-line block ×3, first 2 shown]
	v_fma_f64 v[8:9], v[8:9], v[66:67], -v[68:69]
	v_fma_f64 v[18:19], v[18:19], v[70:71], -v[72:73]
	;; [unrolled: 1-line block ×3, first 2 shown]
	v_fma_f64 v[32:33], v[44:45], v[95:96], v[46:47]
	v_fma_f64 v[44:45], v[58:59], v[103:104], v[143:144]
	;; [unrolled: 1-line block ×4, first 2 shown]
	v_fma_f64 v[20:21], v[20:21], v[40:41], -v[139:140]
	v_fma_f64 v[10:11], v[10:11], v[58:59], -v[60:61]
	;; [unrolled: 1-line block ×3, first 2 shown]
	v_fma_f64 v[38:39], v[36:37], v[99:100], v[38:39]
	v_fma_f64 v[14:15], v[14:15], v[36:37], -v[141:142]
	v_add_co_u32 v117, vcc_lo, v151, v117
	v_add_co_ci_u32_e32 v118, vcc_lo, v152, v118, vcc_lo
	v_add_f64 v[56:57], v[28:29], v[91:92]
	v_add_f64 v[12:13], v[28:29], v[30:31]
	v_add_f64 v[64:65], v[28:29], -v[30:31]
	v_add_f64 v[36:37], v[16:17], -v[26:27]
	v_add_f64 v[58:59], v[16:17], v[26:27]
	v_add_f64 v[72:73], v[48:49], v[50:51]
	;; [unrolled: 1-line block ×7, first 2 shown]
	v_add_f64 v[84:85], v[32:33], -v[34:35]
	v_add_f64 v[70:71], v[44:45], v[46:47]
	v_add_co_u32 v119, vcc_lo, v151, v119
	v_add_f64 v[32:33], v[10:11], v[40:41]
	v_add_f64 v[68:69], v[42:43], v[38:39]
	v_add_f64 v[95:96], v[20:21], v[14:15]
	v_add_co_ci_u32_e32 v120, vcc_lo, v152, v120, vcc_lo
	v_lshlrev_b64 v[125:126], 4, v[125:126]
	v_add_co_u32 v121, vcc_lo, v151, v121
	v_add_co_ci_u32_e32 v122, vcc_lo, v152, v122, vcc_lo
	v_add_co_u32 v123, vcc_lo, v151, v123
	v_add_co_ci_u32_e32 v124, vcc_lo, v152, v124, vcc_lo
	;; [unrolled: 2-line block ×3, first 2 shown]
	v_add_f64 v[86:87], v[20:21], -v[14:15]
	v_add_f64 v[20:21], v[2:3], v[20:21]
	v_add_f64 v[103:104], v[48:49], v[52:53]
	;; [unrolled: 1-line block ×4, first 2 shown]
	v_add_f64 v[97:98], v[42:43], -v[38:39]
	v_add_f64 v[42:43], v[44:45], v[74:75]
	v_add_f64 v[133:134], v[8:9], -v[18:19]
	v_fma_f64 v[52:53], v[72:73], -0.5, v[52:53]
	v_add_f64 v[72:73], v[48:49], -v[50:51]
	v_fma_f64 v[54:55], v[82:83], -0.5, v[54:55]
	v_add_f64 v[101:102], v[44:45], -v[46:47]
	v_add_f64 v[44:45], v[0:1], v[10:11]
	v_add_f64 v[99:100], v[10:11], -v[40:41]
	v_fma_f64 v[70:71], v[70:71], -0.5, v[74:75]
	v_add_f64 v[8:9], v[30:31], v[56:57]
	v_fma_f64 v[30:31], v[32:33], -0.5, v[0:1]
	v_fma_f64 v[68:69], v[68:69], -0.5, v[76:77]
	;; [unrolled: 1-line block ×3, first 2 shown]
	v_add_f64 v[6:7], v[16:17], v[26:27]
	v_fma_f64 v[26:27], v[95:96], -0.5, v[2:3]
	v_add_f64 v[60:61], v[22:23], -v[24:25]
	v_add_f64 v[22:23], v[4:5], v[22:23]
	v_fma_f64 v[91:92], v[12:13], -0.5, v[91:92]
	v_fma_f64 v[88:89], v[28:29], -0.5, v[89:90]
	;; [unrolled: 1-line block ×3, first 2 shown]
	v_add_f64 v[0:1], v[20:21], v[14:15]
	v_add_f64 v[20:21], v[103:104], v[50:51]
	;; [unrolled: 1-line block ×4, first 2 shown]
	v_fma_f64 v[48:49], v[133:134], s[4:5], v[52:53]
	v_add_f64 v[2:3], v[38:39], v[93:94]
	v_fma_f64 v[46:47], v[72:73], s[0:1], v[54:55]
	v_fma_f64 v[42:43], v[72:73], s[4:5], v[54:55]
	v_add_f64 v[14:15], v[44:45], v[40:41]
	v_fma_f64 v[44:45], v[133:134], s[0:1], v[52:53]
	v_fma_f64 v[52:53], v[99:100], s[4:5], v[70:71]
	;; [unrolled: 1-line block ×6, first 2 shown]
	v_add_f64 v[12:13], v[34:35], v[66:67]
	v_fma_f64 v[54:55], v[97:98], s[0:1], v[26:27]
	v_fma_f64 v[34:35], v[97:98], s[4:5], v[26:27]
	v_add_f64 v[10:11], v[22:23], v[24:25]
	v_fma_f64 v[24:25], v[36:37], s[0:1], v[91:92]
	v_fma_f64 v[28:29], v[36:37], s[4:5], v[91:92]
	;; [unrolled: 1-line block ×6, first 2 shown]
	v_lshlrev_b64 v[127:128], 4, v[127:128]
	v_fma_f64 v[30:31], v[84:85], s[4:5], v[4:5]
	v_fma_f64 v[26:27], v[64:65], s[0:1], v[74:75]
	v_lshlrev_b64 v[129:130], 4, v[129:130]
	v_fma_f64 v[22:23], v[64:65], s[4:5], v[74:75]
	v_add_co_u32 v4, vcc_lo, v151, v127
	v_add_co_ci_u32_e32 v5, vcc_lo, v152, v128, vcc_lo
	v_add_co_u32 v64, vcc_lo, v151, v129
	v_add_co_ci_u32_e32 v65, vcc_lo, v152, v130, vcc_lo
	global_store_dwordx4 v[78:79], v[18:21], off
	global_store_dwordx4 v[107:108], v[46:49], off
	;; [unrolled: 1-line block ×15, first 2 shown]
.LBB0_27:
	s_endpgm
	.section	.rodata,"a",@progbits
	.p2align	6, 0x0
	.amdhsa_kernel fft_rtc_fwd_len1365_factors_13_7_5_3_wgs_182_tpt_91_halfLds_dp_ip_CI_sbrr_dirReg
		.amdhsa_group_segment_fixed_size 0
		.amdhsa_private_segment_fixed_size 12
		.amdhsa_kernarg_size 88
		.amdhsa_user_sgpr_count 6
		.amdhsa_user_sgpr_private_segment_buffer 1
		.amdhsa_user_sgpr_dispatch_ptr 0
		.amdhsa_user_sgpr_queue_ptr 0
		.amdhsa_user_sgpr_kernarg_segment_ptr 1
		.amdhsa_user_sgpr_dispatch_id 0
		.amdhsa_user_sgpr_flat_scratch_init 0
		.amdhsa_user_sgpr_private_segment_size 0
		.amdhsa_wavefront_size32 1
		.amdhsa_uses_dynamic_stack 0
		.amdhsa_system_sgpr_private_segment_wavefront_offset 1
		.amdhsa_system_sgpr_workgroup_id_x 1
		.amdhsa_system_sgpr_workgroup_id_y 0
		.amdhsa_system_sgpr_workgroup_id_z 0
		.amdhsa_system_sgpr_workgroup_info 0
		.amdhsa_system_vgpr_workitem_id 0
		.amdhsa_next_free_vgpr 255
		.amdhsa_next_free_sgpr 52
		.amdhsa_reserve_vcc 1
		.amdhsa_reserve_flat_scratch 0
		.amdhsa_float_round_mode_32 0
		.amdhsa_float_round_mode_16_64 0
		.amdhsa_float_denorm_mode_32 3
		.amdhsa_float_denorm_mode_16_64 3
		.amdhsa_dx10_clamp 1
		.amdhsa_ieee_mode 1
		.amdhsa_fp16_overflow 0
		.amdhsa_workgroup_processor_mode 1
		.amdhsa_memory_ordered 1
		.amdhsa_forward_progress 0
		.amdhsa_shared_vgpr_count 0
		.amdhsa_exception_fp_ieee_invalid_op 0
		.amdhsa_exception_fp_denorm_src 0
		.amdhsa_exception_fp_ieee_div_zero 0
		.amdhsa_exception_fp_ieee_overflow 0
		.amdhsa_exception_fp_ieee_underflow 0
		.amdhsa_exception_fp_ieee_inexact 0
		.amdhsa_exception_int_div_zero 0
	.end_amdhsa_kernel
	.text
.Lfunc_end0:
	.size	fft_rtc_fwd_len1365_factors_13_7_5_3_wgs_182_tpt_91_halfLds_dp_ip_CI_sbrr_dirReg, .Lfunc_end0-fft_rtc_fwd_len1365_factors_13_7_5_3_wgs_182_tpt_91_halfLds_dp_ip_CI_sbrr_dirReg
                                        ; -- End function
	.section	.AMDGPU.csdata,"",@progbits
; Kernel info:
; codeLenInByte = 19816
; NumSgprs: 54
; NumVgprs: 255
; ScratchSize: 12
; MemoryBound: 1
; FloatMode: 240
; IeeeMode: 1
; LDSByteSize: 0 bytes/workgroup (compile time only)
; SGPRBlocks: 6
; VGPRBlocks: 31
; NumSGPRsForWavesPerEU: 54
; NumVGPRsForWavesPerEU: 255
; Occupancy: 4
; WaveLimiterHint : 1
; COMPUTE_PGM_RSRC2:SCRATCH_EN: 1
; COMPUTE_PGM_RSRC2:USER_SGPR: 6
; COMPUTE_PGM_RSRC2:TRAP_HANDLER: 0
; COMPUTE_PGM_RSRC2:TGID_X_EN: 1
; COMPUTE_PGM_RSRC2:TGID_Y_EN: 0
; COMPUTE_PGM_RSRC2:TGID_Z_EN: 0
; COMPUTE_PGM_RSRC2:TIDIG_COMP_CNT: 0
	.text
	.p2alignl 6, 3214868480
	.fill 48, 4, 3214868480
	.type	__hip_cuid_51e0743feb3a6756,@object ; @__hip_cuid_51e0743feb3a6756
	.section	.bss,"aw",@nobits
	.globl	__hip_cuid_51e0743feb3a6756
__hip_cuid_51e0743feb3a6756:
	.byte	0                               ; 0x0
	.size	__hip_cuid_51e0743feb3a6756, 1

	.ident	"AMD clang version 19.0.0git (https://github.com/RadeonOpenCompute/llvm-project roc-6.4.0 25133 c7fe45cf4b819c5991fe208aaa96edf142730f1d)"
	.section	".note.GNU-stack","",@progbits
	.addrsig
	.addrsig_sym __hip_cuid_51e0743feb3a6756
	.amdgpu_metadata
---
amdhsa.kernels:
  - .args:
      - .actual_access:  read_only
        .address_space:  global
        .offset:         0
        .size:           8
        .value_kind:     global_buffer
      - .offset:         8
        .size:           8
        .value_kind:     by_value
      - .actual_access:  read_only
        .address_space:  global
        .offset:         16
        .size:           8
        .value_kind:     global_buffer
      - .actual_access:  read_only
        .address_space:  global
        .offset:         24
        .size:           8
        .value_kind:     global_buffer
      - .offset:         32
        .size:           8
        .value_kind:     by_value
      - .actual_access:  read_only
        .address_space:  global
        .offset:         40
        .size:           8
        .value_kind:     global_buffer
      - .actual_access:  read_only
        .address_space:  global
        .offset:         48
        .size:           8
        .value_kind:     global_buffer
      - .offset:         56
        .size:           4
        .value_kind:     by_value
      - .actual_access:  read_only
        .address_space:  global
        .offset:         64
        .size:           8
        .value_kind:     global_buffer
      - .actual_access:  read_only
        .address_space:  global
        .offset:         72
        .size:           8
        .value_kind:     global_buffer
      - .address_space:  global
        .offset:         80
        .size:           8
        .value_kind:     global_buffer
    .group_segment_fixed_size: 0
    .kernarg_segment_align: 8
    .kernarg_segment_size: 88
    .language:       OpenCL C
    .language_version:
      - 2
      - 0
    .max_flat_workgroup_size: 182
    .name:           fft_rtc_fwd_len1365_factors_13_7_5_3_wgs_182_tpt_91_halfLds_dp_ip_CI_sbrr_dirReg
    .private_segment_fixed_size: 12
    .sgpr_count:     54
    .sgpr_spill_count: 0
    .symbol:         fft_rtc_fwd_len1365_factors_13_7_5_3_wgs_182_tpt_91_halfLds_dp_ip_CI_sbrr_dirReg.kd
    .uniform_work_group_size: 1
    .uses_dynamic_stack: false
    .vgpr_count:     255
    .vgpr_spill_count: 2
    .wavefront_size: 32
    .workgroup_processor_mode: 1
amdhsa.target:   amdgcn-amd-amdhsa--gfx1030
amdhsa.version:
  - 1
  - 2
...

	.end_amdgpu_metadata
